;; amdgpu-corpus repo=ROCm/aiter kind=harvested arch=n/a opt=n/a

/root/src/amdgpu-assembly/repos/ROCm__aiter/hsa/gfx950/fmoe_2stages/fmoe_stage1_bf16_pertokenFp8_g1u1_144x128_pf3.co:	file format elf64-amdgpu

Disassembly of section .text:

0000000000002a00 <_ZN5aiter45fmoe_stage1_bf16_pertokenFp8_g1u1_144x128_pf3E>:
	s_and_b32 s1, s1, 0xffff                                   // 000000002A00: 8601FF01 0000FFFF
	s_load_dwordx2 s[8:9], s[0:1], 0x0                         // 000000002A08: C0060200 00000000
	s_load_dwordx2 s[20:21], s[0:1], 0x10                      // 000000002A10: C0060500 00000010
	s_load_dwordx2 s[24:25], s[0:1], 0x20                      // 000000002A18: C0060600 00000020
	s_load_dwordx2 s[48:49], s[0:1], 0x30                      // 000000002A20: C0060C00 00000030
	s_load_dwordx2 s[28:29], s[0:1], 0x40                      // 000000002A28: C0060700 00000040
	s_load_dwordx2 s[32:33], s[0:1], 0x50                      // 000000002A30: C0060800 00000050
	s_load_dwordx2 s[36:37], s[0:1], 0x60                      // 000000002A38: C0060900 00000060
	s_load_dwordx2 s[12:13], s[0:1], 0x70                      // 000000002A40: C0060300 00000070
	s_load_dwordx2 s[44:45], s[0:1], 0x80                      // 000000002A48: C0060B00 00000080
	s_mov_b32 s89, 0                                           // 000000002A50: BED90080
	s_load_dword s64, s[0:1], 0x90                             // 000000002A54: C0021000 00000090
	s_load_dword s65, s[0:1], 0xa0                             // 000000002A5C: C0021040 000000A0
	s_load_dword s66, s[0:1], 0xb0                             // 000000002A64: C0021080 000000B0
	s_load_dword s67, s[0:1], 0xc0                             // 000000002A6C: C00210C0 000000C0
	s_load_dword s68, s[0:1], 0xd0                             // 000000002A74: C0021100 000000D0
	s_load_dword s69, s[0:1], 0xe0                             // 000000002A7C: C0021140 000000E0
	s_load_dword s71, s[0:1], 0xf0                             // 000000002A84: C00211C0 000000F0
	s_load_dword s72, s[0:1], 0x100                            // 000000002A8C: C0021200 00000100
	s_load_dword s74, s[0:1], 0x110                            // 000000002A94: C0021280 00000110
	s_load_dword s76, s[0:1], 0x120                            // 000000002A9C: C0021300 00000120
	s_load_dword s56, s[0:1], 0x130                            // 000000002AA4: C0020E00 00000130
	s_load_dword s88, s[0:1], 0x140                            // 000000002AAC: C0021600 00000140
	s_load_dword s89, s[0:1], 0x150                            // 000000002AB4: C0021640 00000150
	v_lshrrev_b32_e32 v1, 10, v0                               // 000000002ABC: 2002008A
	v_lshrrev_b32_e32 v2, 10, v1                               // 000000002AC0: 2004028A
	v_and_b32_e32 v2, 0x3ff, v2                                // 000000002AC4: 260404FF 000003FF
	v_and_b32_e32 v1, 0x3ff, v1                                // 000000002ACC: 260202FF 000003FF
	v_and_b32_e32 v0, 0x3ff, v0                                // 000000002AD4: 260000FF 000003FF
	v_lshrrev_b32_e32 v3, 6, v0                                // 000000002ADC: 20060086
	v_and_b32_e32 v0, 63, v0                                   // 000000002AE0: 260000BF
	s_mov_b32 s2, s2                                           // 000000002AE4: BE820002
	s_mov_b32 s3, s3                                           // 000000002AE8: BE830003
	s_mov_b32 s4, s4                                           // 000000002AEC: BE840004
	v_readfirstlane_b32 s7, v3                                 // 000000002AF0: 7E0E0503
	s_waitcnt lgkmcnt(0)                                       // 000000002AF4: BF8CC07F
	s_and_b32 s49, s49, 0xffff                                 // 000000002AF8: 8631FF31 0000FFFF
	s_load_dword s48, s[48:49], 0x0                            // 000000002B00: C0020C18 00000000
	s_and_b32 s45, s45, 0xffff                                 // 000000002B08: 862DFF2D 0000FFFF
	s_and_b32 s9, s9, 0xffff                                   // 000000002B10: 8609FF09 0000FFFF
	s_mul_i32 s60, s66, s68                                    // 000000002B18: 923C4442
	s_mul_i32 s61, s66, 4                                      // 000000002B1C: 923D8442
	s_mov_b32 s22, s60                                         // 000000002B20: BE96003C
	s_mov_b32 s26, -16                                         // 000000002B24: BE9A00D0
	s_mov_b32 s30, s61                                         // 000000002B28: BE9E003D
	s_mov_b32 s14, 0x240                                       // 000000002B2C: BE8E00FF 00000240
	s_mov_b32 s38, -16                                         // 000000002B34: BEA600D0
	s_mov_b32 s10, -16                                         // 000000002B38: BE8A00D0
	s_mov_b32 s34, 0x200                                       // 000000002B3C: BEA200FF 00000200
	s_mov_b32 s23, 0x20000                                     // 000000002B44: BE9700FF 00020000
	s_mov_b32 s27, 0x20000                                     // 000000002B4C: BE9B00FF 00020000
	s_mov_b32 s31, 0x20000                                     // 000000002B54: BE9F00FF 00020000
	s_mov_b32 s35, 0x20000                                     // 000000002B5C: BEA300FF 00020000
	s_mov_b32 s15, 0x20000                                     // 000000002B64: BE8F00FF 00020000
	s_mov_b32 s39, 0x20000                                     // 000000002B6C: BEA700FF 00020000
	s_mov_b32 s11, 0x20000                                     // 000000002B74: BE8B00FF 00020000
	s_and_b32 s21, s21, 0xffff                                 // 000000002B7C: 8615FF15 0000FFFF
	s_and_b32 s25, s25, 0xffff                                 // 000000002B84: 8619FF19 0000FFFF
	s_and_b32 s29, s29, 0xffff                                 // 000000002B8C: 861DFF1D 0000FFFF
	s_and_b32 s33, s33, 0xffff                                 // 000000002B94: 8621FF21 0000FFFF
	s_and_b32 s13, s13, 0xffff                                 // 000000002B9C: 860DFF0D 0000FFFF
	s_and_b32 s37, s37, 0xffff                                 // 000000002BA4: 8625FF25 0000FFFF
	s_or_b32 s21, s21, 0x40000                                 // 000000002BAC: 8715FF15 00040000
	s_or_b32 s25, s25, 0x40000                                 // 000000002BB4: 8719FF19 00040000
	s_or_b32 s29, s29, 0x40000                                 // 000000002BBC: 871DFF1D 00040000
	s_or_b32 s33, s33, 0x40000                                 // 000000002BC4: 8721FF21 00040000
	s_or_b32 s13, s13, 0x40000                                 // 000000002BCC: 870DFF0D 00040000
	s_or_b32 s37, s37, 0x40000                                 // 000000002BD4: 8725FF25 00040000
	v_accvgpr_write_b32 a191, 0                                // 000000002BDC: D3D940BF 18000080
	v_mov_b32_e32 v231, 0                                      // 000000002BE4: 7FCE0280
	s_waitcnt lgkmcnt(0)                                       // 000000002BE8: BF8CC07F
	s_mul_i32 s60, s3, 0x90                                    // 000000002BEC: 923CFF03 00000090
	s_cmp_lt_i32 s60, s48                                      // 000000002BF4: BF04303C
	s_cbranch_scc0 label_42F6                                  // 000000002BF8: BF844274
	s_mov_b32 s80, 0                                           // 000000002BFC: BED00080
	s_lshr_b32 s81, s64, s88                                   // 000000002C00: 8F515840
	s_mul_i32 s60, s3, 4                                       // 000000002C04: 923C8403
	s_add_u32 s44, s60, s44                                    // 000000002C08: 802C2C3C
	s_addc_u32 s45, 0, s45                                     // 000000002C0C: 822D2D80
	s_load_dword s5, s[44:45], 0x0                             // 000000002C10: C0020156 00000000
	s_mul_i32 s60, s3, 0x90                                    // 000000002C18: 923CFF03 00000090
	s_mul_i32 s60, 4, s60                                      // 000000002C20: 923C3C84
	s_add_u32 s12, s60, s12                                    // 000000002C24: 800C0C3C
	s_addc_u32 s13, 0, s13                                     // 000000002C28: 820D0D80
	v_and_b32_e32 v4, 15, v0                                   // 000000002C2C: 2608008F
	v_lshlrev_b32_e32 v4, 2, v4                                // 000000002C30: 24080882
	buffer_load_dword v30, v4, s[12:15], 0 offen               // 000000002C34: E0501000 80031E04
	v_add_u32_e32 v4, 64, v4                                   // 000000002C3C: 680808C0
	buffer_load_dword v31, v4, s[12:15], 0 offen               // 000000002C40: E0501000 80031F04
	v_add_u32_e32 v4, 64, v4                                   // 000000002C48: 680808C0
	buffer_load_dword v32, v4, s[12:15], 0 offen               // 000000002C4C: E0501000 80032004
	v_add_u32_e32 v4, 64, v4                                   // 000000002C54: 680808C0
	buffer_load_dword v33, v4, s[12:15], 0 offen               // 000000002C58: E0501000 80032104
	v_add_u32_e32 v4, 64, v4                                   // 000000002C60: 680808C0
	buffer_load_dword v34, v4, s[12:15], 0 offen               // 000000002C64: E0501000 80032204
	v_add_u32_e32 v4, 64, v4                                   // 000000002C6C: 680808C0
	buffer_load_dword v35, v4, s[12:15], 0 offen               // 000000002C70: E0501000 80032304
	v_add_u32_e32 v4, 64, v4                                   // 000000002C78: 680808C0
	buffer_load_dword v36, v4, s[12:15], 0 offen               // 000000002C7C: E0501000 80032404
	v_add_u32_e32 v4, 64, v4                                   // 000000002C84: 680808C0
	buffer_load_dword v37, v4, s[12:15], 0 offen               // 000000002C88: E0501000 80032504
	v_add_u32_e32 v4, 64, v4                                   // 000000002C90: 680808C0
	buffer_load_dword v38, v4, s[12:15], 0 offen               // 000000002C94: E0501000 80032604
	v_add_u32_e32 v4, 64, v4                                   // 000000002C9C: 680808C0
	s_mul_i32 s60, 4, s7                                       // 000000002CA0: 923C0784
	v_lshlrev_b32_e32 v4, 4, v0                                // 000000002CA4: 24080084
	v_add_u32_e32 v4, s60, v4                                  // 000000002CA8: 6808083C
	buffer_load_dword v3, v4, s[12:15], 0 offen                // 000000002CAC: E0501000 80030304
	v_mov_b32_e32 v88, 0                                       // 000000002CB4: 7EB00280
	v_mov_b32_e32 v160, 0                                      // 000000002CB8: 7F400280
	v_mov_b32_e32 v89, 0                                       // 000000002CBC: 7EB20280
	v_mov_b32_e32 v161, 0                                      // 000000002CC0: 7F420280
	v_mov_b32_e32 v90, 0                                       // 000000002CC4: 7EB40280
	v_mov_b32_e32 v162, 0                                      // 000000002CC8: 7F440280
	v_mov_b32_e32 v91, 0                                       // 000000002CCC: 7EB60280
	v_mov_b32_e32 v163, 0                                      // 000000002CD0: 7F460280
	v_mov_b32_e32 v92, 0                                       // 000000002CD4: 7EB80280
	v_mov_b32_e32 v164, 0                                      // 000000002CD8: 7F480280
	v_mov_b32_e32 v93, 0                                       // 000000002CDC: 7EBA0280
	v_mov_b32_e32 v165, 0                                      // 000000002CE0: 7F4A0280
	v_mov_b32_e32 v94, 0                                       // 000000002CE4: 7EBC0280
	v_mov_b32_e32 v166, 0                                      // 000000002CE8: 7F4C0280
	v_mov_b32_e32 v95, 0                                       // 000000002CEC: 7EBE0280
	v_mov_b32_e32 v167, 0                                      // 000000002CF0: 7F4E0280
	v_mov_b32_e32 v96, 0                                       // 000000002CF4: 7EC00280
	v_mov_b32_e32 v168, 0                                      // 000000002CF8: 7F500280
	v_mov_b32_e32 v97, 0                                       // 000000002CFC: 7EC20280
	v_mov_b32_e32 v169, 0                                      // 000000002D00: 7F520280
	v_mov_b32_e32 v98, 0                                       // 000000002D04: 7EC40280
	v_mov_b32_e32 v170, 0                                      // 000000002D08: 7F540280
	v_mov_b32_e32 v99, 0                                       // 000000002D0C: 7EC60280
	v_mov_b32_e32 v171, 0                                      // 000000002D10: 7F560280
	v_mov_b32_e32 v100, 0                                      // 000000002D14: 7EC80280
	v_mov_b32_e32 v172, 0                                      // 000000002D18: 7F580280
	v_mov_b32_e32 v101, 0                                      // 000000002D1C: 7ECA0280
	v_mov_b32_e32 v173, 0                                      // 000000002D20: 7F5A0280
	v_mov_b32_e32 v102, 0                                      // 000000002D24: 7ECC0280
	v_mov_b32_e32 v174, 0                                      // 000000002D28: 7F5C0280
	v_mov_b32_e32 v103, 0                                      // 000000002D2C: 7ECE0280
	v_mov_b32_e32 v175, 0                                      // 000000002D30: 7F5E0280
	v_mov_b32_e32 v104, 0                                      // 000000002D34: 7ED00280
	v_mov_b32_e32 v176, 0                                      // 000000002D38: 7F600280
	v_mov_b32_e32 v105, 0                                      // 000000002D3C: 7ED20280
	v_mov_b32_e32 v177, 0                                      // 000000002D40: 7F620280
	v_mov_b32_e32 v106, 0                                      // 000000002D44: 7ED40280
	v_mov_b32_e32 v178, 0                                      // 000000002D48: 7F640280
	v_mov_b32_e32 v107, 0                                      // 000000002D4C: 7ED60280
	v_mov_b32_e32 v179, 0                                      // 000000002D50: 7F660280
	v_mov_b32_e32 v108, 0                                      // 000000002D54: 7ED80280
	v_mov_b32_e32 v180, 0                                      // 000000002D58: 7F680280
	v_mov_b32_e32 v109, 0                                      // 000000002D5C: 7EDA0280
	v_mov_b32_e32 v181, 0                                      // 000000002D60: 7F6A0280
	v_mov_b32_e32 v110, 0                                      // 000000002D64: 7EDC0280
	v_mov_b32_e32 v182, 0                                      // 000000002D68: 7F6C0280
	v_mov_b32_e32 v111, 0                                      // 000000002D6C: 7EDE0280
	v_mov_b32_e32 v183, 0                                      // 000000002D70: 7F6E0280
	v_mov_b32_e32 v112, 0                                      // 000000002D74: 7EE00280
	v_mov_b32_e32 v184, 0                                      // 000000002D78: 7F700280
	v_mov_b32_e32 v113, 0                                      // 000000002D7C: 7EE20280
	v_mov_b32_e32 v185, 0                                      // 000000002D80: 7F720280
	v_mov_b32_e32 v114, 0                                      // 000000002D84: 7EE40280
	v_mov_b32_e32 v186, 0                                      // 000000002D88: 7F740280
	v_mov_b32_e32 v115, 0                                      // 000000002D8C: 7EE60280
	v_mov_b32_e32 v187, 0                                      // 000000002D90: 7F760280
	v_mov_b32_e32 v116, 0                                      // 000000002D94: 7EE80280
	v_mov_b32_e32 v188, 0                                      // 000000002D98: 7F780280
	v_mov_b32_e32 v117, 0                                      // 000000002D9C: 7EEA0280
	v_mov_b32_e32 v189, 0                                      // 000000002DA0: 7F7A0280
	v_mov_b32_e32 v118, 0                                      // 000000002DA4: 7EEC0280
	v_mov_b32_e32 v190, 0                                      // 000000002DA8: 7F7C0280
	v_mov_b32_e32 v119, 0                                      // 000000002DAC: 7EEE0280
	v_mov_b32_e32 v191, 0                                      // 000000002DB0: 7F7E0280
	v_mov_b32_e32 v120, 0                                      // 000000002DB4: 7EF00280
	v_mov_b32_e32 v192, 0                                      // 000000002DB8: 7F800280
	v_mov_b32_e32 v121, 0                                      // 000000002DBC: 7EF20280
	v_mov_b32_e32 v193, 0                                      // 000000002DC0: 7F820280
	v_mov_b32_e32 v122, 0                                      // 000000002DC4: 7EF40280
	v_mov_b32_e32 v194, 0                                      // 000000002DC8: 7F840280
	v_mov_b32_e32 v123, 0                                      // 000000002DCC: 7EF60280
	v_mov_b32_e32 v195, 0                                      // 000000002DD0: 7F860280
	v_mov_b32_e32 v124, 0                                      // 000000002DD4: 7EF80280
	v_mov_b32_e32 v196, 0                                      // 000000002DD8: 7F880280
	v_mov_b32_e32 v125, 0                                      // 000000002DDC: 7EFA0280
	v_mov_b32_e32 v197, 0                                      // 000000002DE0: 7F8A0280
	v_mov_b32_e32 v126, 0                                      // 000000002DE4: 7EFC0280
	v_mov_b32_e32 v198, 0                                      // 000000002DE8: 7F8C0280
	v_mov_b32_e32 v127, 0                                      // 000000002DEC: 7EFE0280
	v_mov_b32_e32 v199, 0                                      // 000000002DF0: 7F8E0280
	v_mov_b32_e32 v128, 0                                      // 000000002DF4: 7F000280
	v_mov_b32_e32 v200, 0                                      // 000000002DF8: 7F900280
	v_mov_b32_e32 v129, 0                                      // 000000002DFC: 7F020280
	v_mov_b32_e32 v201, 0                                      // 000000002E00: 7F920280
	v_mov_b32_e32 v130, 0                                      // 000000002E04: 7F040280
	v_mov_b32_e32 v202, 0                                      // 000000002E08: 7F940280
	v_mov_b32_e32 v131, 0                                      // 000000002E0C: 7F060280
	v_mov_b32_e32 v203, 0                                      // 000000002E10: 7F960280
	v_mov_b32_e32 v132, 0                                      // 000000002E14: 7F080280
	v_mov_b32_e32 v204, 0                                      // 000000002E18: 7F980280
	v_mov_b32_e32 v133, 0                                      // 000000002E1C: 7F0A0280
	v_mov_b32_e32 v205, 0                                      // 000000002E20: 7F9A0280
	v_mov_b32_e32 v134, 0                                      // 000000002E24: 7F0C0280
	v_mov_b32_e32 v206, 0                                      // 000000002E28: 7F9C0280
	v_mov_b32_e32 v135, 0                                      // 000000002E2C: 7F0E0280
	v_mov_b32_e32 v207, 0                                      // 000000002E30: 7F9E0280
	v_mov_b32_e32 v136, 0                                      // 000000002E34: 7F100280
	v_mov_b32_e32 v208, 0                                      // 000000002E38: 7FA00280
	v_mov_b32_e32 v137, 0                                      // 000000002E3C: 7F120280
	v_mov_b32_e32 v209, 0                                      // 000000002E40: 7FA20280
	v_mov_b32_e32 v138, 0                                      // 000000002E44: 7F140280
	v_mov_b32_e32 v210, 0                                      // 000000002E48: 7FA40280
	v_mov_b32_e32 v139, 0                                      // 000000002E4C: 7F160280
	v_mov_b32_e32 v211, 0                                      // 000000002E50: 7FA60280
	v_mov_b32_e32 v140, 0                                      // 000000002E54: 7F180280
	v_mov_b32_e32 v212, 0                                      // 000000002E58: 7FA80280
	v_mov_b32_e32 v141, 0                                      // 000000002E5C: 7F1A0280
	v_mov_b32_e32 v213, 0                                      // 000000002E60: 7FAA0280
	v_mov_b32_e32 v142, 0                                      // 000000002E64: 7F1C0280
	v_mov_b32_e32 v214, 0                                      // 000000002E68: 7FAC0280
	v_mov_b32_e32 v143, 0                                      // 000000002E6C: 7F1E0280
	v_mov_b32_e32 v215, 0                                      // 000000002E70: 7FAE0280
	v_mov_b32_e32 v144, 0                                      // 000000002E74: 7F200280
	v_mov_b32_e32 v216, 0                                      // 000000002E78: 7FB00280
	v_mov_b32_e32 v145, 0                                      // 000000002E7C: 7F220280
	v_mov_b32_e32 v217, 0                                      // 000000002E80: 7FB20280
	v_mov_b32_e32 v146, 0                                      // 000000002E84: 7F240280
	v_mov_b32_e32 v218, 0                                      // 000000002E88: 7FB40280
	v_mov_b32_e32 v147, 0                                      // 000000002E8C: 7F260280
	v_mov_b32_e32 v219, 0                                      // 000000002E90: 7FB60280
	v_mov_b32_e32 v148, 0                                      // 000000002E94: 7F280280
	v_mov_b32_e32 v220, 0                                      // 000000002E98: 7FB80280
	v_mov_b32_e32 v149, 0                                      // 000000002E9C: 7F2A0280
	v_mov_b32_e32 v221, 0                                      // 000000002EA0: 7FBA0280
	v_mov_b32_e32 v150, 0                                      // 000000002EA4: 7F2C0280
	v_mov_b32_e32 v222, 0                                      // 000000002EA8: 7FBC0280
	v_mov_b32_e32 v151, 0                                      // 000000002EAC: 7F2E0280
	v_mov_b32_e32 v223, 0                                      // 000000002EB0: 7FBE0280
	v_mov_b32_e32 v152, 0                                      // 000000002EB4: 7F300280
	v_mov_b32_e32 v224, 0                                      // 000000002EB8: 7FC00280
	v_mov_b32_e32 v153, 0                                      // 000000002EBC: 7F320280
	v_mov_b32_e32 v225, 0                                      // 000000002EC0: 7FC20280
	v_mov_b32_e32 v154, 0                                      // 000000002EC4: 7F340280
	v_mov_b32_e32 v226, 0                                      // 000000002EC8: 7FC40280
	v_mov_b32_e32 v155, 0                                      // 000000002ECC: 7F360280
	v_mov_b32_e32 v227, 0                                      // 000000002ED0: 7FC60280
	v_mov_b32_e32 v156, 0                                      // 000000002ED4: 7F380280
	v_mov_b32_e32 v228, 0                                      // 000000002ED8: 7FC80280
	v_mov_b32_e32 v157, 0                                      // 000000002EDC: 7F3A0280
	v_mov_b32_e32 v229, 0                                      // 000000002EE0: 7FCA0280
	v_mov_b32_e32 v158, 0                                      // 000000002EE4: 7F3C0280
	v_mov_b32_e32 v230, 0                                      // 000000002EE8: 7FCC0280
	v_mov_b32_e32 v159, 0                                      // 000000002EEC: 7F3E0280
	v_mov_b32_e32 v231, 0                                      // 000000002EF0: 7FCE0280
	s_mul_i32 s60, s2, 0x100                                   // 000000002EF4: 923CFF02 00000100
	s_cmp_eq_u32 s88, 0                                        // 000000002EFC: BF068058
	s_cselect_b32 s61, 1, 2                                    // 000000002F00: 853D8281
	s_mul_i32 s60, s60, s61                                    // 000000002F04: 923C3D3C
	s_mov_b32 s90, s8                                          // 000000002F08: BEDA0008
	s_mov_b32 s91, s9                                          // 000000002F0C: BEDB0009
	s_add_u32 s8, s60, s8                                      // 000000002F10: 8008083C
	s_addc_u32 s9, 0, s9                                       // 000000002F14: 82090980
	v_lshrrev_b32_e32 v4, 4, v0                                // 000000002F18: 20080084
	v_mul_lo_u32 v20, 34, v4                                   // 000000002F1C: D2850014 000208A2
	v_and_b32_e32 v4, 15, v0                                   // 000000002F24: 2608008F
	v_mul_lo_u32 v5, 2, v4                                     // 000000002F28: D2850005 00020882
	v_add_u32_e32 v20, v5, v20                                 // 000000002F30: 68282905
	s_mul_i32 s60, s7, 0x88                                    // 000000002F34: 923CFF07 00000088
	v_add_u32_e32 v20, s60, v20                                // 000000002F3C: 6828283C
	v_lshlrev_b32_e32 v20, 2, v20                              // 000000002F40: 24282882
	v_and_b32_e32 v4, 31, v0                                   // 000000002F44: 2608009F
	v_lshrrev_b32_e32 v4, 1, v4                                // 000000002F48: 20080881
	v_mul_lo_u32 v21, 34, v4                                   // 000000002F4C: D2850015 000208A2
	v_lshrrev_b32_e32 v4, 5, v0                                // 000000002F54: 20080085
	v_mul_lo_u32 v4, 8, v4                                     // 000000002F58: D2850004 00020888
	v_add_u32_e32 v21, v21, v4                                 // 000000002F60: 682A0915
	v_and_b32_e32 v5, 1, v0                                    // 000000002F64: 260A0081
	v_add_u32_e32 v21, v5, v21                                 // 000000002F68: 682A2B05
	s_mul_i32 s60, s7, 2                                       // 000000002F6C: 923C8207
	v_add_u32_e32 v21, s60, v21                                // 000000002F70: 682A2A3C
	v_lshlrev_b32_e32 v21, 2, v21                              // 000000002F74: 242A2A82
	s_mul_i32 s60, s7, 0x1220                                  // 000000002F78: 923CFF07 00001220
	s_add_u32 s48, 0, s60                                      // 000000002F80: 80303C80
	s_add_u32 s49, 0x4880, s48                                 // 000000002F84: 803130FF 00004880
	s_add_u32 s50, 0x4880, s49                                 // 000000002F8C: 803231FF 00004880
	v_lshrrev_b32_e32 v4, 4, v0                                // 000000002F94: 20080084
	v_lshlrev_b32_e32 v5, 2, v4                                // 000000002F98: 240A0882
	v_and_b32_e32 v4, 15, v0                                   // 000000002F9C: 2608008F
	v_lshrrev_b32_e32 v6, 2, v4                                // 000000002FA0: 200C0882
	v_lshlrev_b32_e32 v6, 5, v6                                // 000000002FA4: 240C0C85
	v_add_u32_e32 v5, v6, v5                                   // 000000002FA8: 680A0B06
	v_and_b32_e32 v4, 3, v0                                    // 000000002FAC: 26080083
	v_mul_u32_u24_e32 v6, 0x488, v4                            // 000000002FB0: 100C08FF 00000488
	v_add_u32_e32 v5, v6, v5                                   // 000000002FB8: 680A0B06
	v_lshlrev_b32_e32 v2, 2, v5                                // 000000002FBC: 24040A82
	s_waitcnt lgkmcnt(0)                                       // 000000002FC0: BF8CC07F
	s_mul_i32 s60, s2, 0x80                                    // 000000002FC4: 923CFF02 00000080
	s_mul_i32 s60, s60, s69                                    // 000000002FCC: 923C453C
	s_mul_i32 s61, s5, s72                                     // 000000002FD0: 923D4805
	s_add_u32 s60, s61, s60                                    // 000000002FD4: 803C3C3D
	s_add_u32 s24, s60, s24                                    // 000000002FD8: 8018183C
	s_addc_u32 s25, 0, s25                                     // 000000002FDC: 82191980
	s_lshr_b32 s60, s64, s88                                   // 000000002FE0: 8F3C5840
	s_mul_i32 s60, s4, s60                                     // 000000002FE4: 923C3C04
	s_lshr_b32 s60, s60, 7                                     // 000000002FE8: 8F3C873C
	s_mul_i32 s60, s60, 0x800                                  // 000000002FEC: 923CFF3C 00000800
	s_add_u32 s24, s60, s24                                    // 000000002FF4: 8018183C
	s_addc_u32 s25, 0, s25                                     // 000000002FF8: 82191980
	s_lshr_b32 s60, s69, s88                                   // 000000002FFC: 8F3C5845
	s_mul_i32 s60, s4, s60                                     // 000000003000: 923C3C04
	s_add_u32 s20, s60, s20                                    // 000000003004: 8014143C
	s_addc_u32 s21, 0, s21                                     // 000000003008: 82151580
	s_mul_i32 s60, s7, 16                                      // 00000000300C: 923C9007
	s_mul_i32 s60, s60, s69                                    // 000000003010: 923C453C
	v_lshlrev_b32_e32 v84, 4, v0                               // 000000003014: 24A80084
	v_add_u32_e32 v84, s60, v84                                // 000000003018: 68A8A83C
	s_mul_i32 s60, 64, s69                                     // 00000000301C: 923C45C0
	v_add_u32_e32 v85, s60, v84                                // 000000003020: 68AAA83C
	s_mov_b32 s84, s24                                         // 000000003024: BED40018
	s_mov_b32 s85, s25                                         // 000000003028: BED50019
	s_mov_b32 s86, s26                                         // 00000000302C: BED6001A
	s_mov_b32 s87, s27                                         // 000000003030: BED7001B
	s_mul_i32 s60, s69, s65                                    // 000000003034: 923C4145
	s_add_u32 s84, s60, s84                                    // 000000003038: 8054543C
	s_addc_u32 s85, 0, s85                                     // 00000000303C: 82555580
	v_lshrrev_b32_e32 v4, 4, v0                                // 000000003040: 20080084
	v_lshlrev_b32_e32 v5, 2, v4                                // 000000003044: 240A0882
	v_and_b32_e32 v4, 15, v0                                   // 000000003048: 2608008F
	v_lshrrev_b32_e32 v6, 2, v4                                // 00000000304C: 200C0882
	v_lshlrev_b32_e32 v6, 6, v6                                // 000000003050: 240C0C86
	v_add_u32_e32 v5, v6, v5                                   // 000000003054: 680A0B06
	v_and_b32_e32 v4, 3, v0                                    // 000000003058: 26080083
	v_add_u32_e32 v5, v4, v5                                   // 00000000305C: 680A0B04
	v_lshlrev_b32_e32 v22, 2, v5                               // 000000003060: 242C0A82
	s_mul_i32 s60, s7, 16                                      // 000000003064: 923C9007
	s_mul_i32 s60, s60, 4                                      // 000000003068: 923C843C
	v_add_u32_e32 v22, s60, v22                                // 00000000306C: 682C2C3C
	s_mul_i32 s60, s2, 0x80                                    // 000000003070: 923CFF02 00000080
	s_mul_i32 s60, s60, 4                                      // 000000003078: 923C843C
	s_mul_i32 s61, s5, s74                                     // 00000000307C: 923D4A05
	s_add_u32 s61, s61, s60                                    // 000000003080: 803D3C3D
	s_add_u32 s32, s61, s32                                    // 000000003084: 8020203D
	s_addc_u32 s33, 0, s33                                     // 000000003088: 82212180
	s_mov_b32 s57, 0x80                                        // 00000000308C: BEB900FF 00000080
	s_mov_b32 s58, 0x800                                       // 000000003094: BEBA00FF 00000800
	s_mov_b32 s83, s58                                         // 00000000309C: BED3003A
	s_mov_b32 s52, 0x7060302                                   // 0000000030A0: BEB400FF 07060302
	s_mov_b32 s53, 0x400                                       // 0000000030A8: BEB500FF 00000400
	s_mov_b32 s54, 0x40100                                     // 0000000030B0: BEB600FF 00040100
	s_mov_b32 s55, 0x4020100                                   // 0000000030B8: BEB700FF 04020100
	s_mov_b32 s6, 0x3fb8aa3b                                   // 0000000030C0: BE8600FF 3FB8AA3B
	s_mov_b32 s78, 0xbd92220c                                  // 0000000030C8: BECE00FF BD92220C
	s_mov_b32 s79, 0xbd92220c                                  // 0000000030D0: BECF00FF BD92220C
	s_mov_b32 m0, s48                                          // 0000000030D8: BEFC0030
	v_mov_b32_e32 v1, 0xbfcc4231                               // 0000000030DC: 7E0202FF BFCC4231
	v_mov_b32_e32 v17, 0xffff0000                              // 0000000030E4: 7E2202FF FFFF0000
	v_mov_b32_e32 v18, 0x7fff0000                              // 0000000030EC: 7E2402FF 7FFF0000
	v_mov_b32_e32 v19, 0x7fff                                  // 0000000030F4: 7E2602FF 00007FFF
	s_waitcnt vmcnt(0) expcnt(0) lgkmcnt(0)                    // 0000000030FC: BF8C0000
	v_lshrrev_b32_e32 v4, 5, v0                                // 000000003100: 20080085
	v_xor_b32_e32 v5, 1, v4                                    // 000000003104: 2A0A0881
	v_readlane_b32 s82, v3, 0                                  // 000000003108: D2890052 00010103
	s_and_b32 s82, s82, 0xffffff                               // 000000003110: 8652FF52 00FFFFFF
	v_mul_lo_u32 v6, v5, s82                                   // 000000003118: D2850006 0000A505
	v_readlane_b32 s82, v3, 1                                  // 000000003120: D2890052 00010303
	s_and_b32 s82, s82, 0xffffff                               // 000000003128: 8652FF52 00FFFFFF
	v_mul_lo_u32 v7, v4, s82                                   // 000000003130: D2850007 0000A504
	v_add_u32_e32 v66, v6, v7                                  // 000000003138: 68840F06
	v_mul_lo_u32 v66, v66, s68                                 // 00000000313C: D2850042 00008942
	v_readlane_b32 s82, v3, 2                                  // 000000003144: D2890052 00010503
	s_and_b32 s82, s82, 0xffffff                               // 00000000314C: 8652FF52 00FFFFFF
	v_mul_lo_u32 v6, v5, s82                                   // 000000003154: D2850006 0000A505
	v_readlane_b32 s82, v3, 3                                  // 00000000315C: D2890052 00010703
	s_and_b32 s82, s82, 0xffffff                               // 000000003164: 8652FF52 00FFFFFF
	v_mul_lo_u32 v7, v4, s82                                   // 00000000316C: D2850007 0000A504
	v_add_u32_e32 v67, v6, v7                                  // 000000003174: 68860F06
	v_mul_lo_u32 v67, v67, s68                                 // 000000003178: D2850043 00008943
	v_readlane_b32 s82, v3, 4                                  // 000000003180: D2890052 00010903
	s_and_b32 s82, s82, 0xffffff                               // 000000003188: 8652FF52 00FFFFFF
	v_mul_lo_u32 v6, v5, s82                                   // 000000003190: D2850006 0000A505
	v_readlane_b32 s82, v3, 5                                  // 000000003198: D2890052 00010B03
	s_and_b32 s82, s82, 0xffffff                               // 0000000031A0: 8652FF52 00FFFFFF
	v_mul_lo_u32 v7, v4, s82                                   // 0000000031A8: D2850007 0000A504
	v_add_u32_e32 v68, v6, v7                                  // 0000000031B0: 68880F06
	v_mul_lo_u32 v68, v68, s68                                 // 0000000031B4: D2850044 00008944
	v_readlane_b32 s82, v3, 6                                  // 0000000031BC: D2890052 00010D03
	s_and_b32 s82, s82, 0xffffff                               // 0000000031C4: 8652FF52 00FFFFFF
	v_mul_lo_u32 v6, v5, s82                                   // 0000000031CC: D2850006 0000A505
	v_readlane_b32 s82, v3, 7                                  // 0000000031D4: D2890052 00010F03
	s_and_b32 s82, s82, 0xffffff                               // 0000000031DC: 8652FF52 00FFFFFF
	v_mul_lo_u32 v7, v4, s82                                   // 0000000031E4: D2850007 0000A504
	v_add_u32_e32 v69, v6, v7                                  // 0000000031EC: 688A0F06
	v_mul_lo_u32 v69, v69, s68                                 // 0000000031F0: D2850045 00008945
	v_readlane_b32 s82, v3, 8                                  // 0000000031F8: D2890052 00011103
	s_and_b32 s82, s82, 0xffffff                               // 000000003200: 8652FF52 00FFFFFF
	v_mul_lo_u32 v6, v5, s82                                   // 000000003208: D2850006 0000A505
	v_readlane_b32 s82, v3, 9                                  // 000000003210: D2890052 00011303
	s_and_b32 s82, s82, 0xffffff                               // 000000003218: 8652FF52 00FFFFFF
	v_mul_lo_u32 v7, v4, s82                                   // 000000003220: D2850007 0000A504
	v_add_u32_e32 v70, v6, v7                                  // 000000003228: 688C0F06
	v_mul_lo_u32 v70, v70, s68                                 // 00000000322C: D2850046 00008946
	v_readlane_b32 s82, v3, 10                                 // 000000003234: D2890052 00011503
	s_and_b32 s82, s82, 0xffffff                               // 00000000323C: 8652FF52 00FFFFFF
	v_mul_lo_u32 v6, v5, s82                                   // 000000003244: D2850006 0000A505
	v_readlane_b32 s82, v3, 11                                 // 00000000324C: D2890052 00011703
	s_and_b32 s82, s82, 0xffffff                               // 000000003254: 8652FF52 00FFFFFF
	v_mul_lo_u32 v7, v4, s82                                   // 00000000325C: D2850007 0000A504
	v_add_u32_e32 v71, v6, v7                                  // 000000003264: 688E0F06
	v_mul_lo_u32 v71, v71, s68                                 // 000000003268: D2850047 00008947
	v_readlane_b32 s82, v3, 12                                 // 000000003270: D2890052 00011903
	s_and_b32 s82, s82, 0xffffff                               // 000000003278: 8652FF52 00FFFFFF
	v_mul_lo_u32 v6, v5, s82                                   // 000000003280: D2850006 0000A505
	v_readlane_b32 s82, v3, 13                                 // 000000003288: D2890052 00011B03
	s_and_b32 s82, s82, 0xffffff                               // 000000003290: 8652FF52 00FFFFFF
	v_mul_lo_u32 v7, v4, s82                                   // 000000003298: D2850007 0000A504
	v_add_u32_e32 v72, v6, v7                                  // 0000000032A0: 68900F06
	v_mul_lo_u32 v72, v72, s68                                 // 0000000032A4: D2850048 00008948
	v_readlane_b32 s82, v3, 14                                 // 0000000032AC: D2890052 00011D03
	s_and_b32 s82, s82, 0xffffff                               // 0000000032B4: 8652FF52 00FFFFFF
	v_mul_lo_u32 v6, v5, s82                                   // 0000000032BC: D2850006 0000A505
	v_readlane_b32 s82, v3, 15                                 // 0000000032C4: D2890052 00011F03
	s_and_b32 s82, s82, 0xffffff                               // 0000000032CC: 8652FF52 00FFFFFF
	v_mul_lo_u32 v7, v4, s82                                   // 0000000032D4: D2850007 0000A504
	v_add_u32_e32 v73, v6, v7                                  // 0000000032DC: 68920F06
	v_mul_lo_u32 v73, v73, s68                                 // 0000000032E0: D2850049 00008949
	v_readlane_b32 s82, v3, 16                                 // 0000000032E8: D2890052 00012103
	s_and_b32 s82, s82, 0xffffff                               // 0000000032F0: 8652FF52 00FFFFFF
	v_mul_lo_u32 v6, v5, s82                                   // 0000000032F8: D2850006 0000A505
	v_readlane_b32 s82, v3, 17                                 // 000000003300: D2890052 00012303
	s_and_b32 s82, s82, 0xffffff                               // 000000003308: 8652FF52 00FFFFFF
	v_mul_lo_u32 v7, v4, s82                                   // 000000003310: D2850007 0000A504
	v_add_u32_e32 v74, v6, v7                                  // 000000003318: 68940F06
	v_mul_lo_u32 v74, v74, s68                                 // 00000000331C: D285004A 0000894A
	v_readlane_b32 s82, v3, 18                                 // 000000003324: D2890052 00012503
	s_and_b32 s82, s82, 0xffffff                               // 00000000332C: 8652FF52 00FFFFFF
	v_mul_lo_u32 v6, v5, s82                                   // 000000003334: D2850006 0000A505
	v_readlane_b32 s82, v3, 19                                 // 00000000333C: D2890052 00012703
	s_and_b32 s82, s82, 0xffffff                               // 000000003344: 8652FF52 00FFFFFF
	v_mul_lo_u32 v7, v4, s82                                   // 00000000334C: D2850007 0000A504
	v_add_u32_e32 v75, v6, v7                                  // 000000003354: 68960F06
	v_mul_lo_u32 v75, v75, s68                                 // 000000003358: D285004B 0000894B
	v_readlane_b32 s82, v3, 20                                 // 000000003360: D2890052 00012903
	s_and_b32 s82, s82, 0xffffff                               // 000000003368: 8652FF52 00FFFFFF
	v_mul_lo_u32 v6, v5, s82                                   // 000000003370: D2850006 0000A505
	v_readlane_b32 s82, v3, 21                                 // 000000003378: D2890052 00012B03
	s_and_b32 s82, s82, 0xffffff                               // 000000003380: 8652FF52 00FFFFFF
	v_mul_lo_u32 v7, v4, s82                                   // 000000003388: D2850007 0000A504
	v_add_u32_e32 v76, v6, v7                                  // 000000003390: 68980F06
	v_mul_lo_u32 v76, v76, s68                                 // 000000003394: D285004C 0000894C
	v_readlane_b32 s82, v3, 22                                 // 00000000339C: D2890052 00012D03
	s_and_b32 s82, s82, 0xffffff                               // 0000000033A4: 8652FF52 00FFFFFF
	v_mul_lo_u32 v6, v5, s82                                   // 0000000033AC: D2850006 0000A505
	v_readlane_b32 s82, v3, 23                                 // 0000000033B4: D2890052 00012F03
	s_and_b32 s82, s82, 0xffffff                               // 0000000033BC: 8652FF52 00FFFFFF
	v_mul_lo_u32 v7, v4, s82                                   // 0000000033C4: D2850007 0000A504
	v_add_u32_e32 v77, v6, v7                                  // 0000000033CC: 689A0F06
	v_mul_lo_u32 v77, v77, s68                                 // 0000000033D0: D285004D 0000894D
	v_readlane_b32 s82, v3, 24                                 // 0000000033D8: D2890052 00013103
	s_and_b32 s82, s82, 0xffffff                               // 0000000033E0: 8652FF52 00FFFFFF
	v_mul_lo_u32 v6, v5, s82                                   // 0000000033E8: D2850006 0000A505
	v_readlane_b32 s82, v3, 25                                 // 0000000033F0: D2890052 00013303
	s_and_b32 s82, s82, 0xffffff                               // 0000000033F8: 8652FF52 00FFFFFF
	v_mul_lo_u32 v7, v4, s82                                   // 000000003400: D2850007 0000A504
	v_add_u32_e32 v78, v6, v7                                  // 000000003408: 689C0F06
	v_mul_lo_u32 v78, v78, s68                                 // 00000000340C: D285004E 0000894E
	v_readlane_b32 s82, v3, 26                                 // 000000003414: D2890052 00013503
	s_and_b32 s82, s82, 0xffffff                               // 00000000341C: 8652FF52 00FFFFFF
	v_mul_lo_u32 v6, v5, s82                                   // 000000003424: D2850006 0000A505
	v_readlane_b32 s82, v3, 27                                 // 00000000342C: D2890052 00013703
	s_and_b32 s82, s82, 0xffffff                               // 000000003434: 8652FF52 00FFFFFF
	v_mul_lo_u32 v7, v4, s82                                   // 00000000343C: D2850007 0000A504
	v_add_u32_e32 v79, v6, v7                                  // 000000003444: 689E0F06
	v_mul_lo_u32 v79, v79, s68                                 // 000000003448: D285004F 0000894F
	v_readlane_b32 s82, v3, 28                                 // 000000003450: D2890052 00013903
	s_and_b32 s82, s82, 0xffffff                               // 000000003458: 8652FF52 00FFFFFF
	v_mul_lo_u32 v6, v5, s82                                   // 000000003460: D2850006 0000A505
	v_readlane_b32 s82, v3, 29                                 // 000000003468: D2890052 00013B03
	s_and_b32 s82, s82, 0xffffff                               // 000000003470: 8652FF52 00FFFFFF
	v_mul_lo_u32 v7, v4, s82                                   // 000000003478: D2850007 0000A504
	v_add_u32_e32 v80, v6, v7                                  // 000000003480: 68A00F06
	v_mul_lo_u32 v80, v80, s68                                 // 000000003484: D2850050 00008950
	v_readlane_b32 s82, v3, 30                                 // 00000000348C: D2890052 00013D03
	s_and_b32 s82, s82, 0xffffff                               // 000000003494: 8652FF52 00FFFFFF
	v_mul_lo_u32 v6, v5, s82                                   // 00000000349C: D2850006 0000A505
	v_readlane_b32 s82, v3, 31                                 // 0000000034A4: D2890052 00013F03
	s_and_b32 s82, s82, 0xffffff                               // 0000000034AC: 8652FF52 00FFFFFF
	v_mul_lo_u32 v7, v4, s82                                   // 0000000034B4: D2850007 0000A504
	v_add_u32_e32 v81, v6, v7                                  // 0000000034BC: 68A20F06
	v_mul_lo_u32 v81, v81, s68                                 // 0000000034C0: D2850051 00008951
	v_readlane_b32 s82, v3, 32                                 // 0000000034C8: D2890052 00014103
	s_and_b32 s82, s82, 0xffffff                               // 0000000034D0: 8652FF52 00FFFFFF
	v_mul_lo_u32 v6, v5, s82                                   // 0000000034D8: D2850006 0000A505
	v_readlane_b32 s82, v3, 33                                 // 0000000034E0: D2890052 00014303
	s_and_b32 s82, s82, 0xffffff                               // 0000000034E8: 8652FF52 00FFFFFF
	v_mul_lo_u32 v7, v4, s82                                   // 0000000034F0: D2850007 0000A504
	v_add_u32_e32 v82, v6, v7                                  // 0000000034F8: 68A40F06
	v_mul_lo_u32 v82, v82, s68                                 // 0000000034FC: D2850052 00008952
	v_readlane_b32 s82, v3, 34                                 // 000000003504: D2890052 00014503
	s_and_b32 s82, s82, 0xffffff                               // 00000000350C: 8652FF52 00FFFFFF
	v_mul_lo_u32 v6, v5, s82                                   // 000000003514: D2850006 0000A505
	v_readlane_b32 s82, v3, 35                                 // 00000000351C: D2890052 00014703
	s_and_b32 s82, s82, 0xffffff                               // 000000003524: 8652FF52 00FFFFFF
	v_mul_lo_u32 v7, v4, s82                                   // 00000000352C: D2850007 0000A504
	v_add_u32_e32 v83, v6, v7                                  // 000000003534: 68A60F06
	v_mul_lo_u32 v83, v83, s68                                 // 000000003538: D2850053 00008953
	v_and_b32_e32 v4, 31, v0                                   // 000000003540: 2608009F
	v_lshlrev_b32_e32 v4, 2, v4                                // 000000003544: 24080882
	v_add_u32_e32 v66, v66, v4                                 // 000000003548: 68840942
	v_add_u32_e32 v67, v67, v4                                 // 00000000354C: 68860943
	v_add_u32_e32 v68, v68, v4                                 // 000000003550: 68880944
	v_add_u32_e32 v69, v69, v4                                 // 000000003554: 688A0945
	v_add_u32_e32 v70, v70, v4                                 // 000000003558: 688C0946
	v_add_u32_e32 v71, v71, v4                                 // 00000000355C: 688E0947
	v_add_u32_e32 v72, v72, v4                                 // 000000003560: 68900948
	v_add_u32_e32 v73, v73, v4                                 // 000000003564: 68920949
	v_add_u32_e32 v74, v74, v4                                 // 000000003568: 6894094A
	v_add_u32_e32 v75, v75, v4                                 // 00000000356C: 6896094B
	v_add_u32_e32 v76, v76, v4                                 // 000000003570: 6898094C
	v_add_u32_e32 v77, v77, v4                                 // 000000003574: 689A094D
	v_add_u32_e32 v78, v78, v4                                 // 000000003578: 689C094E
	v_add_u32_e32 v79, v79, v4                                 // 00000000357C: 689E094F
	v_add_u32_e32 v80, v80, v4                                 // 000000003580: 68A00950
	v_add_u32_e32 v81, v81, v4                                 // 000000003584: 68A20951
	v_add_u32_e32 v82, v82, v4                                 // 000000003588: 68A40952
	v_add_u32_e32 v83, v83, v4                                 // 00000000358C: 68A60953
	v_and_b32_e32 v30, 0xffffff, v30                           // 000000003590: 263C3CFF 00FFFFFF
	v_lshlrev_b32_e32 v30, 2, v30                              // 000000003598: 243C3C82
	v_and_b32_e32 v31, 0xffffff, v31                           // 00000000359C: 263E3EFF 00FFFFFF
	v_lshlrev_b32_e32 v31, 2, v31                              // 0000000035A4: 243E3E82
	v_and_b32_e32 v32, 0xffffff, v32                           // 0000000035A8: 264040FF 00FFFFFF
	v_lshlrev_b32_e32 v32, 2, v32                              // 0000000035B0: 24404082
	v_and_b32_e32 v33, 0xffffff, v33                           // 0000000035B4: 264242FF 00FFFFFF
	v_lshlrev_b32_e32 v33, 2, v33                              // 0000000035BC: 24424282
	v_and_b32_e32 v34, 0xffffff, v34                           // 0000000035C0: 264444FF 00FFFFFF
	v_lshlrev_b32_e32 v34, 2, v34                              // 0000000035C8: 24444482
	v_and_b32_e32 v35, 0xffffff, v35                           // 0000000035CC: 264646FF 00FFFFFF
	v_lshlrev_b32_e32 v35, 2, v35                              // 0000000035D4: 24464682
	v_and_b32_e32 v36, 0xffffff, v36                           // 0000000035D8: 264848FF 00FFFFFF
	v_lshlrev_b32_e32 v36, 2, v36                              // 0000000035E0: 24484882
	v_and_b32_e32 v37, 0xffffff, v37                           // 0000000035E4: 264A4AFF 00FFFFFF
	v_lshlrev_b32_e32 v37, 2, v37                              // 0000000035EC: 244A4A82
	v_and_b32_e32 v38, 0xffffff, v38                           // 0000000035F0: 264C4CFF 00FFFFFF
	v_lshlrev_b32_e32 v38, 2, v38                              // 0000000035F8: 244C4C82
	s_lshl_b32 s3, s66, 2                                      // 0000000035FC: 8E038242
	buffer_load_dword v39, v30, s[28:31], 0 offen              // 000000003600: E0501000 8007271E
	buffer_load_dword v40, v31, s[28:31], 0 offen              // 000000003608: E0501000 8007281F
	buffer_load_dword v41, v32, s[28:31], 0 offen              // 000000003610: E0501000 80072920
	buffer_load_dword v42, v33, s[28:31], 0 offen              // 000000003618: E0501000 80072A21
	buffer_load_dword v43, v34, s[28:31], 0 offen              // 000000003620: E0501000 80072B22
	buffer_load_dword v44, v35, s[28:31], 0 offen              // 000000003628: E0501000 80072C23
	buffer_load_dword v45, v36, s[28:31], 0 offen              // 000000003630: E0501000 80072D24
	buffer_load_dword v46, v37, s[28:31], 0 offen              // 000000003638: E0501000 80072E25
	buffer_load_dword v47, v38, s[28:31], 0 offen              // 000000003640: E0501000 80072F26
	buffer_load_dword v24, v22, s[32:35], 0 offen              // 000000003648: E0501000 80081816
	s_mul_i32 s60, 4, s65                                      // 000000003650: 923C4184
	s_add_u32 s32, s60, s32                                    // 000000003654: 8020203C
	s_addc_u32 s33, 0, s33                                     // 000000003658: 82212180
	buffer_load_dword v27, v22, s[32:35], 0 offen              // 00000000365C: E0501000 80081B16
	buffer_load_dword v66, s[20:23], 0 offen lds               // 000000003664: E0511000 80050042
	s_add_u32 m0, 0x100, s48                                   // 00000000366C: 807C30FF 00000100
	buffer_load_dword v67, s[20:23], 0 offen lds               // 000000003674: E0511000 80050043
	s_add_u32 m0, 0x200, s48                                   // 00000000367C: 807C30FF 00000200
	buffer_load_dword v68, s[20:23], 0 offen lds               // 000000003684: E0511000 80050044
	s_add_u32 m0, 0x300, s48                                   // 00000000368C: 807C30FF 00000300
	buffer_load_dword v69, s[20:23], 0 offen lds               // 000000003694: E0511000 80050045
	s_add_u32 m0, 0x400, s48                                   // 00000000369C: 807C30FF 00000400
	buffer_load_dword v70, s[20:23], 0 offen lds               // 0000000036A4: E0511000 80050046
	s_add_u32 m0, 0x500, s48                                   // 0000000036AC: 807C30FF 00000500
	buffer_load_dword v71, s[20:23], 0 offen lds               // 0000000036B4: E0511000 80050047
	s_add_u32 m0, 0x600, s48                                   // 0000000036BC: 807C30FF 00000600
	buffer_load_dword v72, s[20:23], 0 offen lds               // 0000000036C4: E0511000 80050048
	s_add_u32 m0, 0x700, s48                                   // 0000000036CC: 807C30FF 00000700
	buffer_load_dword v73, s[20:23], 0 offen lds               // 0000000036D4: E0511000 80050049
	s_add_u32 m0, 0x800, s48                                   // 0000000036DC: 807C30FF 00000800
	buffer_load_dword v74, s[20:23], 0 offen lds               // 0000000036E4: E0511000 8005004A
	s_add_u32 m0, 0x900, s48                                   // 0000000036EC: 807C30FF 00000900
	buffer_load_dword v75, s[20:23], 0 offen lds               // 0000000036F4: E0511000 8005004B
	s_add_u32 m0, 0xa00, s48                                   // 0000000036FC: 807C30FF 00000A00
	buffer_load_dword v76, s[20:23], 0 offen lds               // 000000003704: E0511000 8005004C
	s_add_u32 m0, 0xb00, s48                                   // 00000000370C: 807C30FF 00000B00
	buffer_load_dword v77, s[20:23], 0 offen lds               // 000000003714: E0511000 8005004D
	s_add_u32 m0, 0xc00, s48                                   // 00000000371C: 807C30FF 00000C00
	buffer_load_dword v78, s[20:23], 0 offen lds               // 000000003724: E0511000 8005004E
	s_add_u32 m0, 0xd00, s48                                   // 00000000372C: 807C30FF 00000D00
	buffer_load_dword v79, s[20:23], 0 offen lds               // 000000003734: E0511000 8005004F
	s_add_u32 m0, 0xe00, s48                                   // 00000000373C: 807C30FF 00000E00
	buffer_load_dword v80, s[20:23], 0 offen lds               // 000000003744: E0511000 80050050
	s_add_u32 m0, 0xf00, s48                                   // 00000000374C: 807C30FF 00000F00
	buffer_load_dword v81, s[20:23], 0 offen lds               // 000000003754: E0511000 80050051
	s_add_u32 m0, 0x1000, s48                                  // 00000000375C: 807C30FF 00001000
	buffer_load_dword v82, s[20:23], 0 offen lds               // 000000003764: E0511000 80050052
	s_add_u32 m0, 0x1100, s48                                  // 00000000376C: 807C30FF 00001100
	buffer_load_dword v83, s[20:23], 0 offen lds               // 000000003774: E0511000 80050053
	s_add_u32 m0, 0, s49                                       // 00000000377C: 807C3180
	s_add_u32 s20, s57, s20                                    // 000000003780: 80141439
	s_addc_u32 s21, 0, s21                                     // 000000003784: 82151580
	buffer_load_dwordx4 a[144:147], v84, s[24:27], 0 offen     // 000000003788: E05C1000 80869054
	buffer_load_dwordx4 a[148:151], v84, s[24:27], 0 offen offset:1024// 000000003790: E05C1400 80869454
	buffer_load_dwordx4 a[152:155], v85, s[24:27], 0 offen     // 000000003798: E05C1000 80869855
	buffer_load_dwordx4 a[156:159], v85, s[24:27], 0 offen offset:1024// 0000000037A0: E05C1400 80869C55
	s_add_u32 s24, s58, s24                                    // 0000000037A8: 8018183A
	s_addc_u32 s25, 0, s25                                     // 0000000037AC: 82191980
	buffer_load_dword v66, s[20:23], 0 offen lds               // 0000000037B0: E0511000 80050042
	s_add_u32 m0, 0x100, s49                                   // 0000000037B8: 807C31FF 00000100
	buffer_load_dword v67, s[20:23], 0 offen lds               // 0000000037C0: E0511000 80050043
	s_add_u32 m0, 0x200, s49                                   // 0000000037C8: 807C31FF 00000200
	buffer_load_dword v68, s[20:23], 0 offen lds               // 0000000037D0: E0511000 80050044
	s_add_u32 m0, 0x300, s49                                   // 0000000037D8: 807C31FF 00000300
	buffer_load_dword v69, s[20:23], 0 offen lds               // 0000000037E0: E0511000 80050045
	s_add_u32 m0, 0x400, s49                                   // 0000000037E8: 807C31FF 00000400
	buffer_load_dword v70, s[20:23], 0 offen lds               // 0000000037F0: E0511000 80050046
	s_add_u32 m0, 0x500, s49                                   // 0000000037F8: 807C31FF 00000500
	buffer_load_dword v71, s[20:23], 0 offen lds               // 000000003800: E0511000 80050047
	s_add_u32 m0, 0x600, s49                                   // 000000003808: 807C31FF 00000600
	buffer_load_dword v72, s[20:23], 0 offen lds               // 000000003810: E0511000 80050048
	s_add_u32 m0, 0x700, s49                                   // 000000003818: 807C31FF 00000700
	;; [unrolled: 2-line block ×3, first 2 shown]
	buffer_load_dword v74, s[20:23], 0 offen lds               // 000000003830: E0511000 8005004A
	s_add_u32 m0, 0x900, s49                                   // 000000003838: 807C31FF 00000900
	buffer_load_dword v75, s[20:23], 0 offen lds               // 000000003840: E0511000 8005004B
	s_add_u32 m0, 0xa00, s49                                   // 000000003848: 807C31FF 00000A00
	buffer_load_dword v76, s[20:23], 0 offen lds               // 000000003850: E0511000 8005004C
	s_add_u32 m0, 0xb00, s49                                   // 000000003858: 807C31FF 00000B00
	buffer_load_dword v77, s[20:23], 0 offen lds               // 000000003860: E0511000 8005004D
	s_add_u32 m0, 0xc00, s49                                   // 000000003868: 807C31FF 00000C00
	buffer_load_dword v78, s[20:23], 0 offen lds               // 000000003870: E0511000 8005004E
	s_add_u32 m0, 0xd00, s49                                   // 000000003878: 807C31FF 00000D00
	buffer_load_dword v79, s[20:23], 0 offen lds               // 000000003880: E0511000 8005004F
	s_add_u32 m0, 0xe00, s49                                   // 000000003888: 807C31FF 00000E00
	buffer_load_dword v80, s[20:23], 0 offen lds               // 000000003890: E0511000 80050050
	s_add_u32 m0, 0xf00, s49                                   // 000000003898: 807C31FF 00000F00
	buffer_load_dword v81, s[20:23], 0 offen lds               // 0000000038A0: E0511000 80050051
	s_add_u32 m0, 0x1000, s49                                  // 0000000038A8: 807C31FF 00001000
	buffer_load_dword v82, s[20:23], 0 offen lds               // 0000000038B0: E0511000 80050052
	s_add_u32 m0, 0x1100, s49                                  // 0000000038B8: 807C31FF 00001100
	buffer_load_dword v83, s[20:23], 0 offen lds               // 0000000038C0: E0511000 80050053
	s_add_u32 m0, 0, s50                                       // 0000000038C8: 807C3280
	s_add_u32 s20, s57, s20                                    // 0000000038CC: 80141439
	s_addc_u32 s21, 0, s21                                     // 0000000038D0: 82151580
	buffer_load_dwordx4 a[160:163], v84, s[84:87], 0 offen     // 0000000038D4: E05C1000 8095A054
	buffer_load_dwordx4 a[164:167], v84, s[84:87], 0 offen offset:1024// 0000000038DC: E05C1400 8095A454
	buffer_load_dwordx4 a[168:171], v85, s[84:87], 0 offen     // 0000000038E4: E05C1000 8095A855
	buffer_load_dwordx4 a[172:175], v85, s[84:87], 0 offen offset:1024// 0000000038EC: E05C1400 8095AC55
	s_add_u32 s84, s83, s84                                    // 0000000038F4: 80545453
	s_addc_u32 s85, 0, s85                                     // 0000000038F8: 82555580
	s_waitcnt vmcnt(26)                                        // 0000000038FC: BF8C4F7A
	s_barrier                                                  // 000000003900: BF8A0000
	ds_read_b128 a[0:3], v2                                    // 000000003904: DBFE0000 00000002
	ds_read_b128 a[4:7], v2 offset:64                          // 00000000390C: DBFE0040 04000002
	ds_read_b128 a[8:11], v2 offset:512                        // 000000003914: DBFE0200 08000002
	ds_read_b128 a[12:15], v2 offset:576                       // 00000000391C: DBFE0240 0C000002
	ds_read_b128 a[16:19], v2 offset:1024                      // 000000003924: DBFE0400 10000002
	ds_read_b128 a[20:23], v2 offset:1088                      // 00000000392C: DBFE0440 14000002
	ds_read_b128 a[24:27], v2 offset:1536                      // 000000003934: DBFE0600 18000002
	ds_read_b128 a[28:31], v2 offset:1600                      // 00000000393C: DBFE0640 1C000002
	ds_read_b128 a[32:35], v2 offset:2048                      // 000000003944: DBFE0800 20000002
	ds_read_b128 a[36:39], v2 offset:2112                      // 00000000394C: DBFE0840 24000002
	ds_read_b128 a[40:43], v2 offset:2560                      // 000000003954: DBFE0A00 28000002
	ds_read_b128 a[44:47], v2 offset:2624                      // 00000000395C: DBFE0A40 2C000002
	ds_read_b128 a[48:51], v2 offset:3072                      // 000000003964: DBFE0C00 30000002
	ds_read_b128 a[52:55], v2 offset:3136                      // 00000000396C: DBFE0C40 34000002
	ds_read_b128 a[56:59], v2 offset:3584                      // 000000003974: DBFE0E00 38000002
	ds_read_b128 a[60:63], v2 offset:3648                      // 00000000397C: DBFE0E40 3C000002
	ds_read_b128 a[64:67], v2 offset:4096                      // 000000003984: DBFE1000 40000002
	ds_read_b128 a[68:71], v2 offset:4160                      // 00000000398C: DBFE1040 44000002
	s_cmp_lt_i32 s7, 2                                         // 000000003994: BF048207
	s_cbranch_scc0 label_2370                                  // 000000003998: BF841F86

000000000000399c <label_03E7>:
	s_waitcnt vmcnt(22) lgkmcnt(0)                             // 00000000399C: BF8C4076
	v_mfma_f32_16x16x32_fp8_fp8 v[88:91], a[144:145], a[0:1], v[88:91]// 0000000039A0: D3F30058 1D620190
	v_mfma_f32_16x16x32_fp8_fp8 v[88:91], a[146:147], a[2:3], v[88:91]// 0000000039A8: D3F30058 1D620592
	buffer_load_dwordx4 a[176:179], v84, s[24:27], 0 offen     // 0000000039B0: E05C1000 8086B054
	v_mfma_f32_16x16x32_fp8_fp8 v[88:91], a[148:149], a[4:5], v[88:91]// 0000000039B8: D3F30058 1D620994
	v_mfma_f32_16x16x32_fp8_fp8 v[88:91], a[150:151], a[6:7], v[88:91]// 0000000039C0: D3F30058 1D620D96
	v_mfma_f32_16x16x32_fp8_fp8 v[124:127], a[152:153], a[0:1], v[124:127]// 0000000039C8: D3F3007C 1DF20198
	v_mfma_f32_16x16x32_fp8_fp8 v[124:127], a[154:155], a[2:3], v[124:127]// 0000000039D0: D3F3007C 1DF2059A
	buffer_load_dwordx4 a[180:183], v84, s[24:27], 0 offen offset:1024// 0000000039D8: E05C1400 8086B454
	v_mfma_f32_16x16x32_fp8_fp8 v[124:127], a[156:157], a[4:5], v[124:127]// 0000000039E0: D3F3007C 1DF2099C
	v_mfma_f32_16x16x32_fp8_fp8 v[124:127], a[158:159], a[6:7], v[124:127]// 0000000039E8: D3F3007C 1DF20D9E
	v_mfma_f32_16x16x32_fp8_fp8 v[92:95], a[144:145], a[8:9], v[92:95]// 0000000039F0: D3F3005C 1D721190
	v_mfma_f32_16x16x32_fp8_fp8 v[92:95], a[146:147], a[10:11], v[92:95]// 0000000039F8: D3F3005C 1D721592
	buffer_load_dwordx4 a[184:187], v85, s[24:27], 0 offen     // 000000003A00: E05C1000 8086B855
	v_mfma_f32_16x16x32_fp8_fp8 v[92:95], a[148:149], a[12:13], v[92:95]// 000000003A08: D3F3005C 1D721994
	v_mfma_f32_16x16x32_fp8_fp8 v[92:95], a[150:151], a[14:15], v[92:95]// 000000003A10: D3F3005C 1D721D96
	v_mfma_f32_16x16x32_fp8_fp8 v[128:131], a[152:153], a[8:9], v[128:131]// 000000003A18: D3F30080 1E021198
	v_mfma_f32_16x16x32_fp8_fp8 v[128:131], a[154:155], a[10:11], v[128:131]// 000000003A20: D3F30080 1E02159A
	buffer_load_dwordx4 a[188:191], v85, s[24:27], 0 offen offset:1024// 000000003A28: E05C1400 8086BC55
	buffer_load_dword v66, s[20:23], 0 offen lds               // 000000003A30: E0511000 80050042
	s_add_u32 m0, 0x100, s50                                   // 000000003A38: 807C32FF 00000100
	v_mfma_f32_16x16x32_fp8_fp8 v[128:131], a[156:157], a[12:13], v[128:131]// 000000003A40: D3F30080 1E02199C
	v_mfma_f32_16x16x32_fp8_fp8 v[128:131], a[158:159], a[14:15], v[128:131]// 000000003A48: D3F30080 1E021D9E
	buffer_load_dword v67, s[20:23], 0 offen lds               // 000000003A50: E0511000 80050043
	s_add_u32 m0, 0x200, s50                                   // 000000003A58: 807C32FF 00000200
	v_mfma_f32_16x16x32_fp8_fp8 v[96:99], a[144:145], a[16:17], v[96:99]// 000000003A60: D3F30060 1D822190
	v_mfma_f32_16x16x32_fp8_fp8 v[96:99], a[146:147], a[18:19], v[96:99]// 000000003A68: D3F30060 1D822592
	buffer_load_dword v68, s[20:23], 0 offen lds               // 000000003A70: E0511000 80050044
	s_add_u32 m0, 0x300, s50                                   // 000000003A78: 807C32FF 00000300
	v_mfma_f32_16x16x32_fp8_fp8 v[96:99], a[148:149], a[20:21], v[96:99]// 000000003A80: D3F30060 1D822994
	v_mfma_f32_16x16x32_fp8_fp8 v[96:99], a[150:151], a[22:23], v[96:99]// 000000003A88: D3F30060 1D822D96
	buffer_load_dword v69, s[20:23], 0 offen lds               // 000000003A90: E0511000 80050045
	s_add_u32 m0, 0x400, s50                                   // 000000003A98: 807C32FF 00000400
	v_mfma_f32_16x16x32_fp8_fp8 v[132:135], a[152:153], a[16:17], v[132:135]// 000000003AA0: D3F30084 1E122198
	v_mfma_f32_16x16x32_fp8_fp8 v[132:135], a[154:155], a[18:19], v[132:135]// 000000003AA8: D3F30084 1E12259A
	buffer_load_dword v70, s[20:23], 0 offen lds               // 000000003AB0: E0511000 80050046
	s_add_u32 m0, 0x500, s50                                   // 000000003AB8: 807C32FF 00000500
	v_mfma_f32_16x16x32_fp8_fp8 v[132:135], a[156:157], a[20:21], v[132:135]// 000000003AC0: D3F30084 1E12299C
	v_mfma_f32_16x16x32_fp8_fp8 v[132:135], a[158:159], a[22:23], v[132:135]// 000000003AC8: D3F30084 1E122D9E
	buffer_load_dword v71, s[20:23], 0 offen lds               // 000000003AD0: E0511000 80050047
	s_add_u32 m0, 0x600, s50                                   // 000000003AD8: 807C32FF 00000600
	v_mfma_f32_16x16x32_fp8_fp8 v[100:103], a[144:145], a[24:25], v[100:103]// 000000003AE0: D3F30064 1D923190
	v_mfma_f32_16x16x32_fp8_fp8 v[100:103], a[146:147], a[26:27], v[100:103]// 000000003AE8: D3F30064 1D923592
	buffer_load_dword v72, s[20:23], 0 offen lds               // 000000003AF0: E0511000 80050048
	s_add_u32 m0, 0x700, s50                                   // 000000003AF8: 807C32FF 00000700
	v_mfma_f32_16x16x32_fp8_fp8 v[100:103], a[148:149], a[28:29], v[100:103]// 000000003B00: D3F30064 1D923994
	v_mfma_f32_16x16x32_fp8_fp8 v[100:103], a[150:151], a[30:31], v[100:103]// 000000003B08: D3F30064 1D923D96
	buffer_load_dword v73, s[20:23], 0 offen lds               // 000000003B10: E0511000 80050049
	s_add_u32 m0, 0x800, s50                                   // 000000003B18: 807C32FF 00000800
	v_mfma_f32_16x16x32_fp8_fp8 v[136:139], a[152:153], a[24:25], v[136:139]// 000000003B20: D3F30088 1E223198
	v_mfma_f32_16x16x32_fp8_fp8 v[136:139], a[154:155], a[26:27], v[136:139]// 000000003B28: D3F30088 1E22359A
	buffer_load_dword v74, s[20:23], 0 offen lds               // 000000003B30: E0511000 8005004A
	s_add_u32 m0, 0x900, s50                                   // 000000003B38: 807C32FF 00000900
	v_mfma_f32_16x16x32_fp8_fp8 v[136:139], a[156:157], a[28:29], v[136:139]// 000000003B40: D3F30088 1E22399C
	v_mfma_f32_16x16x32_fp8_fp8 v[136:139], a[158:159], a[30:31], v[136:139]// 000000003B48: D3F30088 1E223D9E
	buffer_load_dword v75, s[20:23], 0 offen lds               // 000000003B50: E0511000 8005004B
	s_add_u32 m0, 0xa00, s50                                   // 000000003B58: 807C32FF 00000A00
	v_mfma_f32_16x16x32_fp8_fp8 v[104:107], a[144:145], a[32:33], v[104:107]// 000000003B60: D3F30068 1DA24190
	v_mfma_f32_16x16x32_fp8_fp8 v[104:107], a[146:147], a[34:35], v[104:107]// 000000003B68: D3F30068 1DA24592
	buffer_load_dword v76, s[20:23], 0 offen lds               // 000000003B70: E0511000 8005004C
	s_add_u32 m0, 0xb00, s50                                   // 000000003B78: 807C32FF 00000B00
	v_mfma_f32_16x16x32_fp8_fp8 v[104:107], a[148:149], a[36:37], v[104:107]// 000000003B80: D3F30068 1DA24994
	v_mfma_f32_16x16x32_fp8_fp8 v[104:107], a[150:151], a[38:39], v[104:107]// 000000003B88: D3F30068 1DA24D96
	buffer_load_dword v77, s[20:23], 0 offen lds               // 000000003B90: E0511000 8005004D
	s_add_u32 m0, 0xc00, s50                                   // 000000003B98: 807C32FF 00000C00
	v_mfma_f32_16x16x32_fp8_fp8 v[140:143], a[152:153], a[32:33], v[140:143]// 000000003BA0: D3F3008C 1E324198
	v_mfma_f32_16x16x32_fp8_fp8 v[140:143], a[154:155], a[34:35], v[140:143]// 000000003BA8: D3F3008C 1E32459A
	buffer_load_dword v78, s[20:23], 0 offen lds               // 000000003BB0: E0511000 8005004E
	s_add_u32 m0, 0xd00, s50                                   // 000000003BB8: 807C32FF 00000D00
	v_mfma_f32_16x16x32_fp8_fp8 v[140:143], a[156:157], a[36:37], v[140:143]// 000000003BC0: D3F3008C 1E32499C
	v_mfma_f32_16x16x32_fp8_fp8 v[140:143], a[158:159], a[38:39], v[140:143]// 000000003BC8: D3F3008C 1E324D9E
	buffer_load_dword v79, s[20:23], 0 offen lds               // 000000003BD0: E0511000 8005004F
	s_add_u32 m0, 0xe00, s50                                   // 000000003BD8: 807C32FF 00000E00
	v_mfma_f32_16x16x32_fp8_fp8 v[108:111], a[144:145], a[40:41], v[108:111]// 000000003BE0: D3F3006C 1DB25190
	v_mfma_f32_16x16x32_fp8_fp8 v[108:111], a[146:147], a[42:43], v[108:111]// 000000003BE8: D3F3006C 1DB25592
	buffer_load_dword v80, s[20:23], 0 offen lds               // 000000003BF0: E0511000 80050050
	s_add_u32 m0, 0xf00, s50                                   // 000000003BF8: 807C32FF 00000F00
	v_mfma_f32_16x16x32_fp8_fp8 v[108:111], a[148:149], a[44:45], v[108:111]// 000000003C00: D3F3006C 1DB25994
	v_mfma_f32_16x16x32_fp8_fp8 v[108:111], a[150:151], a[46:47], v[108:111]// 000000003C08: D3F3006C 1DB25D96
	buffer_load_dword v81, s[20:23], 0 offen lds               // 000000003C10: E0511000 80050051
	s_add_u32 m0, 0x1000, s50                                  // 000000003C18: 807C32FF 00001000
	v_mfma_f32_16x16x32_fp8_fp8 v[144:147], a[152:153], a[40:41], v[144:147]// 000000003C20: D3F30090 1E425198
	v_mfma_f32_16x16x32_fp8_fp8 v[144:147], a[154:155], a[42:43], v[144:147]// 000000003C28: D3F30090 1E42559A
	buffer_load_dword v82, s[20:23], 0 offen lds               // 000000003C30: E0511000 80050052
	s_add_u32 m0, 0x1100, s50                                  // 000000003C38: 807C32FF 00001100
	v_mfma_f32_16x16x32_fp8_fp8 v[144:147], a[156:157], a[44:45], v[144:147]// 000000003C40: D3F30090 1E42599C
	v_mfma_f32_16x16x32_fp8_fp8 v[144:147], a[158:159], a[46:47], v[144:147]// 000000003C48: D3F30090 1E425D9E
	buffer_load_dword v83, s[20:23], 0 offen lds               // 000000003C50: E0511000 80050053
	s_add_u32 m0, 0, s48                                       // 000000003C58: 807C3080
	v_mfma_f32_16x16x32_fp8_fp8 v[112:115], a[144:145], a[48:49], v[112:115]// 000000003C5C: D3F30070 1DC26190
	v_mfma_f32_16x16x32_fp8_fp8 v[112:115], a[146:147], a[50:51], v[112:115]// 000000003C64: D3F30070 1DC26592
	v_mfma_f32_16x16x32_fp8_fp8 v[112:115], a[148:149], a[52:53], v[112:115]// 000000003C6C: D3F30070 1DC26994
	v_mfma_f32_16x16x32_fp8_fp8 v[112:115], a[150:151], a[54:55], v[112:115]// 000000003C74: D3F30070 1DC26D96
	v_mfma_f32_16x16x32_fp8_fp8 v[148:151], a[152:153], a[48:49], v[148:151]// 000000003C7C: D3F30094 1E526198
	v_mfma_f32_16x16x32_fp8_fp8 v[148:151], a[154:155], a[50:51], v[148:151]// 000000003C84: D3F30094 1E52659A
	v_mfma_f32_16x16x32_fp8_fp8 v[148:151], a[156:157], a[52:53], v[148:151]// 000000003C8C: D3F30094 1E52699C
	v_mfma_f32_16x16x32_fp8_fp8 v[148:151], a[158:159], a[54:55], v[148:151]// 000000003C94: D3F30094 1E526D9E
	v_mfma_f32_16x16x32_fp8_fp8 v[116:119], a[144:145], a[56:57], v[116:119]// 000000003C9C: D3F30074 1DD27190
	v_mfma_f32_16x16x32_fp8_fp8 v[116:119], a[146:147], a[58:59], v[116:119]// 000000003CA4: D3F30074 1DD27592
	v_mfma_f32_16x16x32_fp8_fp8 v[116:119], a[148:149], a[60:61], v[116:119]// 000000003CAC: D3F30074 1DD27994
	v_mfma_f32_16x16x32_fp8_fp8 v[116:119], a[150:151], a[62:63], v[116:119]// 000000003CB4: D3F30074 1DD27D96
	v_mfma_f32_16x16x32_fp8_fp8 v[152:155], a[152:153], a[56:57], v[152:155]// 000000003CBC: D3F30098 1E627198
	v_mfma_f32_16x16x32_fp8_fp8 v[152:155], a[154:155], a[58:59], v[152:155]// 000000003CC4: D3F30098 1E62759A
	v_mfma_f32_16x16x32_fp8_fp8 v[152:155], a[156:157], a[60:61], v[152:155]// 000000003CCC: D3F30098 1E62799C
	v_mfma_f32_16x16x32_fp8_fp8 v[152:155], a[158:159], a[62:63], v[152:155]// 000000003CD4: D3F30098 1E627D9E
	v_mfma_f32_16x16x32_fp8_fp8 v[120:123], a[144:145], a[64:65], v[120:123]// 000000003CDC: D3F30078 1DE28190
	v_mfma_f32_16x16x32_fp8_fp8 v[120:123], a[146:147], a[66:67], v[120:123]// 000000003CE4: D3F30078 1DE28592
	v_mfma_f32_16x16x32_fp8_fp8 v[120:123], a[148:149], a[68:69], v[120:123]// 000000003CEC: D3F30078 1DE28994
	v_mfma_f32_16x16x32_fp8_fp8 v[120:123], a[150:151], a[70:71], v[120:123]// 000000003CF4: D3F30078 1DE28D96
	v_mfma_f32_16x16x32_fp8_fp8 v[156:159], a[152:153], a[64:65], v[156:159]// 000000003CFC: D3F3009C 1E728198
	v_mfma_f32_16x16x32_fp8_fp8 v[156:159], a[154:155], a[66:67], v[156:159]// 000000003D04: D3F3009C 1E72859A
	v_mfma_f32_16x16x32_fp8_fp8 v[156:159], a[156:157], a[68:69], v[156:159]// 000000003D0C: D3F3009C 1E72899C
	v_mfma_f32_16x16x32_fp8_fp8 v[156:159], a[158:159], a[70:71], v[156:159]// 000000003D14: D3F3009C 1E728D9E
	s_waitcnt vmcnt(22)                                        // 000000003D1C: BF8C4F76
	s_barrier                                                  // 000000003D20: BF8A0000
	v_mfma_f32_16x16x32_fp8_fp8 v[160:163], a[160:161], a[0:1], v[160:163]// 000000003D24: D3F300A0 1E8201A0
	v_mfma_f32_16x16x32_fp8_fp8 v[160:163], a[162:163], a[2:3], v[160:163]// 000000003D2C: D3F300A0 1E8205A2
	buffer_load_dwordx4 a[144:147], v84, s[84:87], 0 offen     // 000000003D34: E05C1000 80959054
	v_mfma_f32_16x16x32_fp8_fp8 v[160:163], a[164:165], a[4:5], v[160:163]// 000000003D3C: D3F300A0 1E8209A4
	v_mfma_f32_16x16x32_fp8_fp8 v[160:163], a[166:167], a[6:7], v[160:163]// 000000003D44: D3F300A0 1E820DA6
	ds_read_b128 a[72:75], v2 offset:18560                     // 000000003D4C: DBFE4880 48000002
	ds_read_b128 a[76:79], v2 offset:18624                     // 000000003D54: DBFE48C0 4C000002
	v_mfma_f32_16x16x32_fp8_fp8 v[196:199], a[168:169], a[0:1], v[196:199]// 000000003D5C: D3F300C4 1F1201A8
	v_mfma_f32_16x16x32_fp8_fp8 v[196:199], a[170:171], a[2:3], v[196:199]// 000000003D64: D3F300C4 1F1205AA
	buffer_load_dwordx4 a[148:151], v84, s[84:87], 0 offen offset:1024// 000000003D6C: E05C1400 80959454
	v_mfma_f32_16x16x32_fp8_fp8 v[196:199], a[172:173], a[4:5], v[196:199]// 000000003D74: D3F300C4 1F1209AC
	v_mfma_f32_16x16x32_fp8_fp8 v[196:199], a[174:175], a[6:7], v[196:199]// 000000003D7C: D3F300C4 1F120DAE
	ds_read_b128 a[80:83], v2 offset:19072                     // 000000003D84: DBFE4A80 50000002
	ds_read_b128 a[84:87], v2 offset:19136                     // 000000003D8C: DBFE4AC0 54000002
	v_mfma_f32_16x16x32_fp8_fp8 v[164:167], a[160:161], a[8:9], v[164:167]// 000000003D94: D3F300A4 1E9211A0
	v_mfma_f32_16x16x32_fp8_fp8 v[164:167], a[162:163], a[10:11], v[164:167]// 000000003D9C: D3F300A4 1E9215A2
	buffer_load_dwordx4 a[152:155], v85, s[84:87], 0 offen     // 000000003DA4: E05C1000 80959855
	v_mfma_f32_16x16x32_fp8_fp8 v[164:167], a[164:165], a[12:13], v[164:167]// 000000003DAC: D3F300A4 1E9219A4
	v_mfma_f32_16x16x32_fp8_fp8 v[164:167], a[166:167], a[14:15], v[164:167]// 000000003DB4: D3F300A4 1E921DA6
	ds_read_b128 a[88:91], v2 offset:19584                     // 000000003DBC: DBFE4C80 58000002
	ds_read_b128 a[92:95], v2 offset:19648                     // 000000003DC4: DBFE4CC0 5C000002
	v_mfma_f32_16x16x32_fp8_fp8 v[200:203], a[168:169], a[8:9], v[200:203]// 000000003DCC: D3F300C8 1F2211A8
	v_mfma_f32_16x16x32_fp8_fp8 v[200:203], a[170:171], a[10:11], v[200:203]// 000000003DD4: D3F300C8 1F2215AA
	buffer_load_dwordx4 a[156:159], v85, s[84:87], 0 offen offset:1024// 000000003DDC: E05C1400 80959C55
	v_mfma_f32_16x16x32_fp8_fp8 v[200:203], a[172:173], a[12:13], v[200:203]// 000000003DE4: D3F300C8 1F2219AC
	v_mfma_f32_16x16x32_fp8_fp8 v[200:203], a[174:175], a[14:15], v[200:203]// 000000003DEC: D3F300C8 1F221DAE
	ds_read_b128 a[96:99], v2 offset:20096                     // 000000003DF4: DBFE4E80 60000002
	ds_read_b128 a[100:103], v2 offset:20160                   // 000000003DFC: DBFE4EC0 64000002
	v_mfma_f32_16x16x32_fp8_fp8 v[168:171], a[160:161], a[16:17], v[168:171]// 000000003E04: D3F300A8 1EA221A0
	v_mfma_f32_16x16x32_fp8_fp8 v[168:171], a[162:163], a[18:19], v[168:171]// 000000003E0C: D3F300A8 1EA225A2
	v_mfma_f32_16x16x32_fp8_fp8 v[168:171], a[164:165], a[20:21], v[168:171]// 000000003E14: D3F300A8 1EA229A4
	v_mfma_f32_16x16x32_fp8_fp8 v[168:171], a[166:167], a[22:23], v[168:171]// 000000003E1C: D3F300A8 1EA22DA6
	ds_read_b128 a[104:107], v2 offset:20608                   // 000000003E24: DBFE5080 68000002
	ds_read_b128 a[108:111], v2 offset:20672                   // 000000003E2C: DBFE50C0 6C000002
	v_mfma_f32_16x16x32_fp8_fp8 v[204:207], a[168:169], a[16:17], v[204:207]// 000000003E34: D3F300CC 1F3221A8
	v_mfma_f32_16x16x32_fp8_fp8 v[204:207], a[170:171], a[18:19], v[204:207]// 000000003E3C: D3F300CC 1F3225AA
	v_mfma_f32_16x16x32_fp8_fp8 v[204:207], a[172:173], a[20:21], v[204:207]// 000000003E44: D3F300CC 1F3229AC
	v_mfma_f32_16x16x32_fp8_fp8 v[204:207], a[174:175], a[22:23], v[204:207]// 000000003E4C: D3F300CC 1F322DAE
	ds_read_b128 a[112:115], v2 offset:21120                   // 000000003E54: DBFE5280 70000002
	ds_read_b128 a[116:119], v2 offset:21184                   // 000000003E5C: DBFE52C0 74000002
	v_mfma_f32_16x16x32_fp8_fp8 v[172:175], a[160:161], a[24:25], v[172:175]// 000000003E64: D3F300AC 1EB231A0
	v_mfma_f32_16x16x32_fp8_fp8 v[172:175], a[162:163], a[26:27], v[172:175]// 000000003E6C: D3F300AC 1EB235A2
	v_mfma_f32_16x16x32_fp8_fp8 v[172:175], a[164:165], a[28:29], v[172:175]// 000000003E74: D3F300AC 1EB239A4
	v_mfma_f32_16x16x32_fp8_fp8 v[172:175], a[166:167], a[30:31], v[172:175]// 000000003E7C: D3F300AC 1EB23DA6
	ds_read_b128 a[120:123], v2 offset:21632                   // 000000003E84: DBFE5480 78000002
	ds_read_b128 a[124:127], v2 offset:21696                   // 000000003E8C: DBFE54C0 7C000002
	v_mfma_f32_16x16x32_fp8_fp8 v[208:211], a[168:169], a[24:25], v[208:211]// 000000003E94: D3F300D0 1F4231A8
	v_mfma_f32_16x16x32_fp8_fp8 v[208:211], a[170:171], a[26:27], v[208:211]// 000000003E9C: D3F300D0 1F4235AA
	v_mfma_f32_16x16x32_fp8_fp8 v[208:211], a[172:173], a[28:29], v[208:211]// 000000003EA4: D3F300D0 1F4239AC
	v_mfma_f32_16x16x32_fp8_fp8 v[208:211], a[174:175], a[30:31], v[208:211]// 000000003EAC: D3F300D0 1F423DAE
	ds_read_b128 a[128:131], v2 offset:22144                   // 000000003EB4: DBFE5680 80000002
	ds_read_b128 a[132:135], v2 offset:22208                   // 000000003EBC: DBFE56C0 84000002
	v_mfma_f32_16x16x32_fp8_fp8 v[176:179], a[160:161], a[32:33], v[176:179]// 000000003EC4: D3F300B0 1EC241A0
	v_mfma_f32_16x16x32_fp8_fp8 v[176:179], a[162:163], a[34:35], v[176:179]// 000000003ECC: D3F300B0 1EC245A2
	v_mfma_f32_16x16x32_fp8_fp8 v[176:179], a[164:165], a[36:37], v[176:179]// 000000003ED4: D3F300B0 1EC249A4
	v_mfma_f32_16x16x32_fp8_fp8 v[176:179], a[166:167], a[38:39], v[176:179]// 000000003EDC: D3F300B0 1EC24DA6
	ds_read_b128 a[136:139], v2 offset:22656                   // 000000003EE4: DBFE5880 88000002
	ds_read_b128 a[140:143], v2 offset:22720                   // 000000003EEC: DBFE58C0 8C000002
	v_mfma_f32_16x16x32_fp8_fp8 v[212:215], a[168:169], a[32:33], v[212:215]// 000000003EF4: D3F300D4 1F5241A8
	v_mfma_f32_16x16x32_fp8_fp8 v[212:215], a[170:171], a[34:35], v[212:215]// 000000003EFC: D3F300D4 1F5245AA
	v_mfma_f32_16x16x32_fp8_fp8 v[212:215], a[172:173], a[36:37], v[212:215]// 000000003F04: D3F300D4 1F5249AC
	v_mfma_f32_16x16x32_fp8_fp8 v[212:215], a[174:175], a[38:39], v[212:215]// 000000003F0C: D3F300D4 1F524DAE
	v_mfma_f32_16x16x32_fp8_fp8 v[180:183], a[160:161], a[40:41], v[180:183]// 000000003F14: D3F300B4 1ED251A0
	v_mfma_f32_16x16x32_fp8_fp8 v[180:183], a[162:163], a[42:43], v[180:183]// 000000003F1C: D3F300B4 1ED255A2
	v_mfma_f32_16x16x32_fp8_fp8 v[180:183], a[164:165], a[44:45], v[180:183]// 000000003F24: D3F300B4 1ED259A4
	v_mfma_f32_16x16x32_fp8_fp8 v[180:183], a[166:167], a[46:47], v[180:183]// 000000003F2C: D3F300B4 1ED25DA6
	v_mfma_f32_16x16x32_fp8_fp8 v[216:219], a[168:169], a[40:41], v[216:219]// 000000003F34: D3F300D8 1F6251A8
	v_mfma_f32_16x16x32_fp8_fp8 v[216:219], a[170:171], a[42:43], v[216:219]// 000000003F3C: D3F300D8 1F6255AA
	v_mfma_f32_16x16x32_fp8_fp8 v[216:219], a[172:173], a[44:45], v[216:219]// 000000003F44: D3F300D8 1F6259AC
	v_mfma_f32_16x16x32_fp8_fp8 v[216:219], a[174:175], a[46:47], v[216:219]// 000000003F4C: D3F300D8 1F625DAE
	v_mfma_f32_16x16x32_fp8_fp8 v[184:187], a[160:161], a[48:49], v[184:187]// 000000003F54: D3F300B8 1EE261A0
	v_mfma_f32_16x16x32_fp8_fp8 v[184:187], a[162:163], a[50:51], v[184:187]// 000000003F5C: D3F300B8 1EE265A2
	v_mfma_f32_16x16x32_fp8_fp8 v[184:187], a[164:165], a[52:53], v[184:187]// 000000003F64: D3F300B8 1EE269A4
	v_mfma_f32_16x16x32_fp8_fp8 v[184:187], a[166:167], a[54:55], v[184:187]// 000000003F6C: D3F300B8 1EE26DA6
	v_mfma_f32_16x16x32_fp8_fp8 v[220:223], a[168:169], a[48:49], v[220:223]// 000000003F74: D3F300DC 1F7261A8
	v_mfma_f32_16x16x32_fp8_fp8 v[220:223], a[170:171], a[50:51], v[220:223]// 000000003F7C: D3F300DC 1F7265AA
	v_mfma_f32_16x16x32_fp8_fp8 v[220:223], a[172:173], a[52:53], v[220:223]// 000000003F84: D3F300DC 1F7269AC
	v_mfma_f32_16x16x32_fp8_fp8 v[220:223], a[174:175], a[54:55], v[220:223]// 000000003F8C: D3F300DC 1F726DAE
	v_mfma_f32_16x16x32_fp8_fp8 v[188:191], a[160:161], a[56:57], v[188:191]// 000000003F94: D3F300BC 1EF271A0
	v_mfma_f32_16x16x32_fp8_fp8 v[188:191], a[162:163], a[58:59], v[188:191]// 000000003F9C: D3F300BC 1EF275A2
	v_mfma_f32_16x16x32_fp8_fp8 v[188:191], a[164:165], a[60:61], v[188:191]// 000000003FA4: D3F300BC 1EF279A4
	v_mfma_f32_16x16x32_fp8_fp8 v[188:191], a[166:167], a[62:63], v[188:191]// 000000003FAC: D3F300BC 1EF27DA6
	v_mfma_f32_16x16x32_fp8_fp8 v[224:227], a[168:169], a[56:57], v[224:227]// 000000003FB4: D3F300E0 1F8271A8
	v_mfma_f32_16x16x32_fp8_fp8 v[224:227], a[170:171], a[58:59], v[224:227]// 000000003FBC: D3F300E0 1F8275AA
	v_mfma_f32_16x16x32_fp8_fp8 v[224:227], a[172:173], a[60:61], v[224:227]// 000000003FC4: D3F300E0 1F8279AC
	v_mfma_f32_16x16x32_fp8_fp8 v[224:227], a[174:175], a[62:63], v[224:227]// 000000003FCC: D3F300E0 1F827DAE
	v_mfma_f32_16x16x32_fp8_fp8 v[192:195], a[160:161], a[64:65], v[192:195]// 000000003FD4: D3F300C0 1F0281A0
	s_add_u32 s60, 0x180, s80                                  // 000000003FDC: 803C50FF 00000180
	s_cmp_lt_u32 s60, s81                                      // 000000003FE4: BF0A513C
	s_cselect_b32 s57, s57, 0                                  // 000000003FE8: 85398039
	v_mfma_f32_16x16x32_fp8_fp8 v[192:195], a[162:163], a[66:67], v[192:195]// 000000003FEC: D3F300C0 1F0285A2
	s_add_u32 s60, 0x100, s80                                  // 000000003FF4: 803C50FF 00000100
	s_cmp_lt_u32 s60, s81                                      // 000000003FFC: BF0A513C
	s_cselect_b32 s58, s58, 0                                  // 000000004000: 853A803A
	v_mfma_f32_16x16x32_fp8_fp8 v[192:195], a[164:165], a[68:69], v[192:195]// 000000004004: D3F300C0 1F0289A4
	s_add_u32 s60, 0x100, s80                                  // 00000000400C: 803C50FF 00000100
	s_cmp_lt_u32 s60, s81                                      // 000000004014: BF0A513C
	s_cselect_b32 s83, s83, 0                                  // 000000004018: 85538053
	v_mfma_f32_16x16x32_fp8_fp8 v[192:195], a[166:167], a[70:71], v[192:195]// 00000000401C: D3F300C0 1F028DA6
	s_add_u32 s24, s58, s24                                    // 000000004024: 8018183A
	s_addc_u32 s25, 0, s25                                     // 000000004028: 82191980
	v_mfma_f32_16x16x32_fp8_fp8 v[228:231], a[168:169], a[64:65], v[228:231]// 00000000402C: D3F300E4 1F9281A8
	s_add_u32 s20, s57, s20                                    // 000000004034: 80141439
	s_addc_u32 s21, 0, s21                                     // 000000004038: 82151580
	v_mfma_f32_16x16x32_fp8_fp8 v[228:231], a[170:171], a[66:67], v[228:231]// 00000000403C: D3F300E4 1F9285AA
	s_add_u32 s84, s83, s84                                    // 000000004044: 80545453
	s_addc_u32 s85, 0, s85                                     // 000000004048: 82555580
	v_mfma_f32_16x16x32_fp8_fp8 v[228:231], a[172:173], a[68:69], v[228:231]// 00000000404C: D3F300E4 1F9289AC
	v_mfma_f32_16x16x32_fp8_fp8 v[228:231], a[174:175], a[70:71], v[228:231]// 000000004054: D3F300E4 1F928DAE
	s_addk_i32 s80, 0x80                                       // 00000000405C: B7500080
	s_cmp_lt_i32 s80, s81                                      // 000000004060: BF045150
	s_cbranch_scc0 label_0E1A                                  // 000000004064: BF840880
	s_waitcnt vmcnt(22) lgkmcnt(0)                             // 000000004068: BF8C4076
	v_mfma_f32_16x16x32_fp8_fp8 v[88:91], a[176:177], a[72:73], v[88:91]// 00000000406C: D3F30058 1D6291B0
	v_mfma_f32_16x16x32_fp8_fp8 v[88:91], a[178:179], a[74:75], v[88:91]// 000000004074: D3F30058 1D6295B2
	buffer_load_dwordx4 a[160:163], v84, s[24:27], 0 offen     // 00000000407C: E05C1000 8086A054
	v_mfma_f32_16x16x32_fp8_fp8 v[88:91], a[180:181], a[76:77], v[88:91]// 000000004084: D3F30058 1D6299B4
	v_mfma_f32_16x16x32_fp8_fp8 v[88:91], a[182:183], a[78:79], v[88:91]// 00000000408C: D3F30058 1D629DB6
	v_mfma_f32_16x16x32_fp8_fp8 v[124:127], a[184:185], a[72:73], v[124:127]// 000000004094: D3F3007C 1DF291B8
	v_mfma_f32_16x16x32_fp8_fp8 v[124:127], a[186:187], a[74:75], v[124:127]// 00000000409C: D3F3007C 1DF295BA
	buffer_load_dwordx4 a[164:167], v84, s[24:27], 0 offen offset:1024// 0000000040A4: E05C1400 8086A454
	v_mfma_f32_16x16x32_fp8_fp8 v[124:127], a[188:189], a[76:77], v[124:127]// 0000000040AC: D3F3007C 1DF299BC
	v_mfma_f32_16x16x32_fp8_fp8 v[124:127], a[190:191], a[78:79], v[124:127]// 0000000040B4: D3F3007C 1DF29DBE
	v_mfma_f32_16x16x32_fp8_fp8 v[92:95], a[176:177], a[80:81], v[92:95]// 0000000040BC: D3F3005C 1D72A1B0
	v_mfma_f32_16x16x32_fp8_fp8 v[92:95], a[178:179], a[82:83], v[92:95]// 0000000040C4: D3F3005C 1D72A5B2
	buffer_load_dwordx4 a[168:171], v85, s[24:27], 0 offen     // 0000000040CC: E05C1000 8086A855
	v_mfma_f32_16x16x32_fp8_fp8 v[92:95], a[180:181], a[84:85], v[92:95]// 0000000040D4: D3F3005C 1D72A9B4
	v_mfma_f32_16x16x32_fp8_fp8 v[92:95], a[182:183], a[86:87], v[92:95]// 0000000040DC: D3F3005C 1D72ADB6
	v_mfma_f32_16x16x32_fp8_fp8 v[128:131], a[184:185], a[80:81], v[128:131]// 0000000040E4: D3F30080 1E02A1B8
	v_mfma_f32_16x16x32_fp8_fp8 v[128:131], a[186:187], a[82:83], v[128:131]// 0000000040EC: D3F30080 1E02A5BA
	buffer_load_dwordx4 a[172:175], v85, s[24:27], 0 offen offset:1024// 0000000040F4: E05C1400 8086AC55
	buffer_load_dword v66, s[20:23], 0 offen lds               // 0000000040FC: E0511000 80050042
	s_add_u32 m0, 0x100, s48                                   // 000000004104: 807C30FF 00000100
	v_mfma_f32_16x16x32_fp8_fp8 v[128:131], a[188:189], a[84:85], v[128:131]// 00000000410C: D3F30080 1E02A9BC
	v_mfma_f32_16x16x32_fp8_fp8 v[128:131], a[190:191], a[86:87], v[128:131]// 000000004114: D3F30080 1E02ADBE
	buffer_load_dword v67, s[20:23], 0 offen lds               // 00000000411C: E0511000 80050043
	s_add_u32 m0, 0x200, s48                                   // 000000004124: 807C30FF 00000200
	v_mfma_f32_16x16x32_fp8_fp8 v[96:99], a[176:177], a[88:89], v[96:99]// 00000000412C: D3F30060 1D82B1B0
	v_mfma_f32_16x16x32_fp8_fp8 v[96:99], a[178:179], a[90:91], v[96:99]// 000000004134: D3F30060 1D82B5B2
	buffer_load_dword v68, s[20:23], 0 offen lds               // 00000000413C: E0511000 80050044
	s_add_u32 m0, 0x300, s48                                   // 000000004144: 807C30FF 00000300
	v_mfma_f32_16x16x32_fp8_fp8 v[96:99], a[180:181], a[92:93], v[96:99]// 00000000414C: D3F30060 1D82B9B4
	v_mfma_f32_16x16x32_fp8_fp8 v[96:99], a[182:183], a[94:95], v[96:99]// 000000004154: D3F30060 1D82BDB6
	buffer_load_dword v69, s[20:23], 0 offen lds               // 00000000415C: E0511000 80050045
	s_add_u32 m0, 0x400, s48                                   // 000000004164: 807C30FF 00000400
	v_mfma_f32_16x16x32_fp8_fp8 v[132:135], a[184:185], a[88:89], v[132:135]// 00000000416C: D3F30084 1E12B1B8
	v_mfma_f32_16x16x32_fp8_fp8 v[132:135], a[186:187], a[90:91], v[132:135]// 000000004174: D3F30084 1E12B5BA
	buffer_load_dword v70, s[20:23], 0 offen lds               // 00000000417C: E0511000 80050046
	s_add_u32 m0, 0x500, s48                                   // 000000004184: 807C30FF 00000500
	v_mfma_f32_16x16x32_fp8_fp8 v[132:135], a[188:189], a[92:93], v[132:135]// 00000000418C: D3F30084 1E12B9BC
	v_mfma_f32_16x16x32_fp8_fp8 v[132:135], a[190:191], a[94:95], v[132:135]// 000000004194: D3F30084 1E12BDBE
	buffer_load_dword v71, s[20:23], 0 offen lds               // 00000000419C: E0511000 80050047
	s_add_u32 m0, 0x600, s48                                   // 0000000041A4: 807C30FF 00000600
	v_mfma_f32_16x16x32_fp8_fp8 v[100:103], a[176:177], a[96:97], v[100:103]// 0000000041AC: D3F30064 1D92C1B0
	v_mfma_f32_16x16x32_fp8_fp8 v[100:103], a[178:179], a[98:99], v[100:103]// 0000000041B4: D3F30064 1D92C5B2
	buffer_load_dword v72, s[20:23], 0 offen lds               // 0000000041BC: E0511000 80050048
	s_add_u32 m0, 0x700, s48                                   // 0000000041C4: 807C30FF 00000700
	v_mfma_f32_16x16x32_fp8_fp8 v[100:103], a[180:181], a[100:101], v[100:103]// 0000000041CC: D3F30064 1D92C9B4
	v_mfma_f32_16x16x32_fp8_fp8 v[100:103], a[182:183], a[102:103], v[100:103]// 0000000041D4: D3F30064 1D92CDB6
	buffer_load_dword v73, s[20:23], 0 offen lds               // 0000000041DC: E0511000 80050049
	s_add_u32 m0, 0x800, s48                                   // 0000000041E4: 807C30FF 00000800
	v_mfma_f32_16x16x32_fp8_fp8 v[136:139], a[184:185], a[96:97], v[136:139]// 0000000041EC: D3F30088 1E22C1B8
	v_mfma_f32_16x16x32_fp8_fp8 v[136:139], a[186:187], a[98:99], v[136:139]// 0000000041F4: D3F30088 1E22C5BA
	buffer_load_dword v74, s[20:23], 0 offen lds               // 0000000041FC: E0511000 8005004A
	s_add_u32 m0, 0x900, s48                                   // 000000004204: 807C30FF 00000900
	v_mfma_f32_16x16x32_fp8_fp8 v[136:139], a[188:189], a[100:101], v[136:139]// 00000000420C: D3F30088 1E22C9BC
	v_mfma_f32_16x16x32_fp8_fp8 v[136:139], a[190:191], a[102:103], v[136:139]// 000000004214: D3F30088 1E22CDBE
	buffer_load_dword v75, s[20:23], 0 offen lds               // 00000000421C: E0511000 8005004B
	s_add_u32 m0, 0xa00, s48                                   // 000000004224: 807C30FF 00000A00
	v_mfma_f32_16x16x32_fp8_fp8 v[104:107], a[176:177], a[104:105], v[104:107]// 00000000422C: D3F30068 1DA2D1B0
	v_mfma_f32_16x16x32_fp8_fp8 v[104:107], a[178:179], a[106:107], v[104:107]// 000000004234: D3F30068 1DA2D5B2
	buffer_load_dword v76, s[20:23], 0 offen lds               // 00000000423C: E0511000 8005004C
	s_add_u32 m0, 0xb00, s48                                   // 000000004244: 807C30FF 00000B00
	v_mfma_f32_16x16x32_fp8_fp8 v[104:107], a[180:181], a[108:109], v[104:107]// 00000000424C: D3F30068 1DA2D9B4
	v_mfma_f32_16x16x32_fp8_fp8 v[104:107], a[182:183], a[110:111], v[104:107]// 000000004254: D3F30068 1DA2DDB6
	buffer_load_dword v77, s[20:23], 0 offen lds               // 00000000425C: E0511000 8005004D
	s_add_u32 m0, 0xc00, s48                                   // 000000004264: 807C30FF 00000C00
	v_mfma_f32_16x16x32_fp8_fp8 v[140:143], a[184:185], a[104:105], v[140:143]// 00000000426C: D3F3008C 1E32D1B8
	v_mfma_f32_16x16x32_fp8_fp8 v[140:143], a[186:187], a[106:107], v[140:143]// 000000004274: D3F3008C 1E32D5BA
	buffer_load_dword v78, s[20:23], 0 offen lds               // 00000000427C: E0511000 8005004E
	s_add_u32 m0, 0xd00, s48                                   // 000000004284: 807C30FF 00000D00
	v_mfma_f32_16x16x32_fp8_fp8 v[140:143], a[188:189], a[108:109], v[140:143]// 00000000428C: D3F3008C 1E32D9BC
	v_mfma_f32_16x16x32_fp8_fp8 v[140:143], a[190:191], a[110:111], v[140:143]// 000000004294: D3F3008C 1E32DDBE
	buffer_load_dword v79, s[20:23], 0 offen lds               // 00000000429C: E0511000 8005004F
	s_add_u32 m0, 0xe00, s48                                   // 0000000042A4: 807C30FF 00000E00
	v_mfma_f32_16x16x32_fp8_fp8 v[108:111], a[176:177], a[112:113], v[108:111]// 0000000042AC: D3F3006C 1DB2E1B0
	v_mfma_f32_16x16x32_fp8_fp8 v[108:111], a[178:179], a[114:115], v[108:111]// 0000000042B4: D3F3006C 1DB2E5B2
	buffer_load_dword v80, s[20:23], 0 offen lds               // 0000000042BC: E0511000 80050050
	s_add_u32 m0, 0xf00, s48                                   // 0000000042C4: 807C30FF 00000F00
	v_mfma_f32_16x16x32_fp8_fp8 v[108:111], a[180:181], a[116:117], v[108:111]// 0000000042CC: D3F3006C 1DB2E9B4
	v_mfma_f32_16x16x32_fp8_fp8 v[108:111], a[182:183], a[118:119], v[108:111]// 0000000042D4: D3F3006C 1DB2EDB6
	buffer_load_dword v81, s[20:23], 0 offen lds               // 0000000042DC: E0511000 80050051
	s_add_u32 m0, 0x1000, s48                                  // 0000000042E4: 807C30FF 00001000
	v_mfma_f32_16x16x32_fp8_fp8 v[144:147], a[184:185], a[112:113], v[144:147]// 0000000042EC: D3F30090 1E42E1B8
	v_mfma_f32_16x16x32_fp8_fp8 v[144:147], a[186:187], a[114:115], v[144:147]// 0000000042F4: D3F30090 1E42E5BA
	buffer_load_dword v82, s[20:23], 0 offen lds               // 0000000042FC: E0511000 80050052
	s_add_u32 m0, 0x1100, s48                                  // 000000004304: 807C30FF 00001100
	v_mfma_f32_16x16x32_fp8_fp8 v[144:147], a[188:189], a[116:117], v[144:147]// 00000000430C: D3F30090 1E42E9BC
	v_mfma_f32_16x16x32_fp8_fp8 v[144:147], a[190:191], a[118:119], v[144:147]// 000000004314: D3F30090 1E42EDBE
	buffer_load_dword v83, s[20:23], 0 offen lds               // 00000000431C: E0511000 80050053
	s_add_u32 m0, 0, s49                                       // 000000004324: 807C3180
	v_mfma_f32_16x16x32_fp8_fp8 v[112:115], a[176:177], a[120:121], v[112:115]// 000000004328: D3F30070 1DC2F1B0
	v_mfma_f32_16x16x32_fp8_fp8 v[112:115], a[178:179], a[122:123], v[112:115]// 000000004330: D3F30070 1DC2F5B2
	v_mfma_f32_16x16x32_fp8_fp8 v[112:115], a[180:181], a[124:125], v[112:115]// 000000004338: D3F30070 1DC2F9B4
	v_mfma_f32_16x16x32_fp8_fp8 v[112:115], a[182:183], a[126:127], v[112:115]// 000000004340: D3F30070 1DC2FDB6
	v_mfma_f32_16x16x32_fp8_fp8 v[148:151], a[184:185], a[120:121], v[148:151]// 000000004348: D3F30094 1E52F1B8
	v_mfma_f32_16x16x32_fp8_fp8 v[148:151], a[186:187], a[122:123], v[148:151]// 000000004350: D3F30094 1E52F5BA
	v_mfma_f32_16x16x32_fp8_fp8 v[148:151], a[188:189], a[124:125], v[148:151]// 000000004358: D3F30094 1E52F9BC
	v_mfma_f32_16x16x32_fp8_fp8 v[148:151], a[190:191], a[126:127], v[148:151]// 000000004360: D3F30094 1E52FDBE
	v_mfma_f32_16x16x32_fp8_fp8 v[116:119], a[176:177], a[128:129], v[116:119]// 000000004368: D3F30074 1DD301B0
	v_mfma_f32_16x16x32_fp8_fp8 v[116:119], a[178:179], a[130:131], v[116:119]// 000000004370: D3F30074 1DD305B2
	v_mfma_f32_16x16x32_fp8_fp8 v[116:119], a[180:181], a[132:133], v[116:119]// 000000004378: D3F30074 1DD309B4
	v_mfma_f32_16x16x32_fp8_fp8 v[116:119], a[182:183], a[134:135], v[116:119]// 000000004380: D3F30074 1DD30DB6
	v_mfma_f32_16x16x32_fp8_fp8 v[152:155], a[184:185], a[128:129], v[152:155]// 000000004388: D3F30098 1E6301B8
	v_mfma_f32_16x16x32_fp8_fp8 v[152:155], a[186:187], a[130:131], v[152:155]// 000000004390: D3F30098 1E6305BA
	v_mfma_f32_16x16x32_fp8_fp8 v[152:155], a[188:189], a[132:133], v[152:155]// 000000004398: D3F30098 1E6309BC
	v_mfma_f32_16x16x32_fp8_fp8 v[152:155], a[190:191], a[134:135], v[152:155]// 0000000043A0: D3F30098 1E630DBE
	v_mfma_f32_16x16x32_fp8_fp8 v[120:123], a[176:177], a[136:137], v[120:123]// 0000000043A8: D3F30078 1DE311B0
	v_mfma_f32_16x16x32_fp8_fp8 v[120:123], a[178:179], a[138:139], v[120:123]// 0000000043B0: D3F30078 1DE315B2
	v_mfma_f32_16x16x32_fp8_fp8 v[120:123], a[180:181], a[140:141], v[120:123]// 0000000043B8: D3F30078 1DE319B4
	v_mfma_f32_16x16x32_fp8_fp8 v[120:123], a[182:183], a[142:143], v[120:123]// 0000000043C0: D3F30078 1DE31DB6
	v_mfma_f32_16x16x32_fp8_fp8 v[156:159], a[184:185], a[136:137], v[156:159]// 0000000043C8: D3F3009C 1E7311B8
	v_mfma_f32_16x16x32_fp8_fp8 v[156:159], a[186:187], a[138:139], v[156:159]// 0000000043D0: D3F3009C 1E7315BA
	v_mfma_f32_16x16x32_fp8_fp8 v[156:159], a[188:189], a[140:141], v[156:159]// 0000000043D8: D3F3009C 1E7319BC
	v_mfma_f32_16x16x32_fp8_fp8 v[156:159], a[190:191], a[142:143], v[156:159]// 0000000043E0: D3F3009C 1E731DBE
	s_waitcnt vmcnt(22)                                        // 0000000043E8: BF8C4F76
	s_barrier                                                  // 0000000043EC: BF8A0000
	v_mfma_f32_16x16x32_fp8_fp8 v[160:163], a[144:145], a[72:73], v[160:163]// 0000000043F0: D3F300A0 1E829190
	v_mfma_f32_16x16x32_fp8_fp8 v[160:163], a[146:147], a[74:75], v[160:163]// 0000000043F8: D3F300A0 1E829592
	buffer_load_dwordx4 a[176:179], v84, s[84:87], 0 offen     // 000000004400: E05C1000 8095B054
	v_mfma_f32_16x16x32_fp8_fp8 v[160:163], a[148:149], a[76:77], v[160:163]// 000000004408: D3F300A0 1E829994
	v_mfma_f32_16x16x32_fp8_fp8 v[160:163], a[150:151], a[78:79], v[160:163]// 000000004410: D3F300A0 1E829D96
	ds_read_b128 a[0:3], v2 offset:37120                       // 000000004418: DBFE9100 00000002
	ds_read_b128 a[4:7], v2 offset:37184                       // 000000004420: DBFE9140 04000002
	v_mfma_f32_16x16x32_fp8_fp8 v[196:199], a[152:153], a[72:73], v[196:199]// 000000004428: D3F300C4 1F129198
	v_mfma_f32_16x16x32_fp8_fp8 v[196:199], a[154:155], a[74:75], v[196:199]// 000000004430: D3F300C4 1F12959A
	buffer_load_dwordx4 a[180:183], v84, s[84:87], 0 offen offset:1024// 000000004438: E05C1400 8095B454
	v_mfma_f32_16x16x32_fp8_fp8 v[196:199], a[156:157], a[76:77], v[196:199]// 000000004440: D3F300C4 1F12999C
	v_mfma_f32_16x16x32_fp8_fp8 v[196:199], a[158:159], a[78:79], v[196:199]// 000000004448: D3F300C4 1F129D9E
	ds_read_b128 a[8:11], v2 offset:37632                      // 000000004450: DBFE9300 08000002
	ds_read_b128 a[12:15], v2 offset:37696                     // 000000004458: DBFE9340 0C000002
	v_mfma_f32_16x16x32_fp8_fp8 v[164:167], a[144:145], a[80:81], v[164:167]// 000000004460: D3F300A4 1E92A190
	v_mfma_f32_16x16x32_fp8_fp8 v[164:167], a[146:147], a[82:83], v[164:167]// 000000004468: D3F300A4 1E92A592
	buffer_load_dwordx4 a[184:187], v85, s[84:87], 0 offen     // 000000004470: E05C1000 8095B855
	v_mfma_f32_16x16x32_fp8_fp8 v[164:167], a[148:149], a[84:85], v[164:167]// 000000004478: D3F300A4 1E92A994
	v_mfma_f32_16x16x32_fp8_fp8 v[164:167], a[150:151], a[86:87], v[164:167]// 000000004480: D3F300A4 1E92AD96
	ds_read_b128 a[16:19], v2 offset:38144                     // 000000004488: DBFE9500 10000002
	ds_read_b128 a[20:23], v2 offset:38208                     // 000000004490: DBFE9540 14000002
	v_mfma_f32_16x16x32_fp8_fp8 v[200:203], a[152:153], a[80:81], v[200:203]// 000000004498: D3F300C8 1F22A198
	v_mfma_f32_16x16x32_fp8_fp8 v[200:203], a[154:155], a[82:83], v[200:203]// 0000000044A0: D3F300C8 1F22A59A
	buffer_load_dwordx4 a[188:191], v85, s[84:87], 0 offen offset:1024// 0000000044A8: E05C1400 8095BC55
	v_mfma_f32_16x16x32_fp8_fp8 v[200:203], a[156:157], a[84:85], v[200:203]// 0000000044B0: D3F300C8 1F22A99C
	v_mfma_f32_16x16x32_fp8_fp8 v[200:203], a[158:159], a[86:87], v[200:203]// 0000000044B8: D3F300C8 1F22AD9E
	ds_read_b128 a[24:27], v2 offset:38656                     // 0000000044C0: DBFE9700 18000002
	ds_read_b128 a[28:31], v2 offset:38720                     // 0000000044C8: DBFE9740 1C000002
	v_mfma_f32_16x16x32_fp8_fp8 v[168:171], a[144:145], a[88:89], v[168:171]// 0000000044D0: D3F300A8 1EA2B190
	v_mfma_f32_16x16x32_fp8_fp8 v[168:171], a[146:147], a[90:91], v[168:171]// 0000000044D8: D3F300A8 1EA2B592
	v_mfma_f32_16x16x32_fp8_fp8 v[168:171], a[148:149], a[92:93], v[168:171]// 0000000044E0: D3F300A8 1EA2B994
	v_mfma_f32_16x16x32_fp8_fp8 v[168:171], a[150:151], a[94:95], v[168:171]// 0000000044E8: D3F300A8 1EA2BD96
	ds_read_b128 a[32:35], v2 offset:39168                     // 0000000044F0: DBFE9900 20000002
	ds_read_b128 a[36:39], v2 offset:39232                     // 0000000044F8: DBFE9940 24000002
	v_mfma_f32_16x16x32_fp8_fp8 v[204:207], a[152:153], a[88:89], v[204:207]// 000000004500: D3F300CC 1F32B198
	v_mfma_f32_16x16x32_fp8_fp8 v[204:207], a[154:155], a[90:91], v[204:207]// 000000004508: D3F300CC 1F32B59A
	v_mfma_f32_16x16x32_fp8_fp8 v[204:207], a[156:157], a[92:93], v[204:207]// 000000004510: D3F300CC 1F32B99C
	v_mfma_f32_16x16x32_fp8_fp8 v[204:207], a[158:159], a[94:95], v[204:207]// 000000004518: D3F300CC 1F32BD9E
	ds_read_b128 a[40:43], v2 offset:39680                     // 000000004520: DBFE9B00 28000002
	ds_read_b128 a[44:47], v2 offset:39744                     // 000000004528: DBFE9B40 2C000002
	v_mfma_f32_16x16x32_fp8_fp8 v[172:175], a[144:145], a[96:97], v[172:175]// 000000004530: D3F300AC 1EB2C190
	v_mfma_f32_16x16x32_fp8_fp8 v[172:175], a[146:147], a[98:99], v[172:175]// 000000004538: D3F300AC 1EB2C592
	v_mfma_f32_16x16x32_fp8_fp8 v[172:175], a[148:149], a[100:101], v[172:175]// 000000004540: D3F300AC 1EB2C994
	v_mfma_f32_16x16x32_fp8_fp8 v[172:175], a[150:151], a[102:103], v[172:175]// 000000004548: D3F300AC 1EB2CD96
	ds_read_b128 a[48:51], v2 offset:40192                     // 000000004550: DBFE9D00 30000002
	ds_read_b128 a[52:55], v2 offset:40256                     // 000000004558: DBFE9D40 34000002
	v_mfma_f32_16x16x32_fp8_fp8 v[208:211], a[152:153], a[96:97], v[208:211]// 000000004560: D3F300D0 1F42C198
	v_mfma_f32_16x16x32_fp8_fp8 v[208:211], a[154:155], a[98:99], v[208:211]// 000000004568: D3F300D0 1F42C59A
	v_mfma_f32_16x16x32_fp8_fp8 v[208:211], a[156:157], a[100:101], v[208:211]// 000000004570: D3F300D0 1F42C99C
	v_mfma_f32_16x16x32_fp8_fp8 v[208:211], a[158:159], a[102:103], v[208:211]// 000000004578: D3F300D0 1F42CD9E
	ds_read_b128 a[56:59], v2 offset:40704                     // 000000004580: DBFE9F00 38000002
	ds_read_b128 a[60:63], v2 offset:40768                     // 000000004588: DBFE9F40 3C000002
	v_mfma_f32_16x16x32_fp8_fp8 v[176:179], a[144:145], a[104:105], v[176:179]// 000000004590: D3F300B0 1EC2D190
	v_mfma_f32_16x16x32_fp8_fp8 v[176:179], a[146:147], a[106:107], v[176:179]// 000000004598: D3F300B0 1EC2D592
	v_mfma_f32_16x16x32_fp8_fp8 v[176:179], a[148:149], a[108:109], v[176:179]// 0000000045A0: D3F300B0 1EC2D994
	v_mfma_f32_16x16x32_fp8_fp8 v[176:179], a[150:151], a[110:111], v[176:179]// 0000000045A8: D3F300B0 1EC2DD96
	ds_read_b128 a[64:67], v2 offset:41216                     // 0000000045B0: DBFEA100 40000002
	ds_read_b128 a[68:71], v2 offset:41280                     // 0000000045B8: DBFEA140 44000002
	v_mfma_f32_16x16x32_fp8_fp8 v[212:215], a[152:153], a[104:105], v[212:215]// 0000000045C0: D3F300D4 1F52D198
	v_mfma_f32_16x16x32_fp8_fp8 v[212:215], a[154:155], a[106:107], v[212:215]// 0000000045C8: D3F300D4 1F52D59A
	v_mfma_f32_16x16x32_fp8_fp8 v[212:215], a[156:157], a[108:109], v[212:215]// 0000000045D0: D3F300D4 1F52D99C
	v_mfma_f32_16x16x32_fp8_fp8 v[212:215], a[158:159], a[110:111], v[212:215]// 0000000045D8: D3F300D4 1F52DD9E
	v_mfma_f32_16x16x32_fp8_fp8 v[180:183], a[144:145], a[112:113], v[180:183]// 0000000045E0: D3F300B4 1ED2E190
	v_mfma_f32_16x16x32_fp8_fp8 v[180:183], a[146:147], a[114:115], v[180:183]// 0000000045E8: D3F300B4 1ED2E592
	v_mfma_f32_16x16x32_fp8_fp8 v[180:183], a[148:149], a[116:117], v[180:183]// 0000000045F0: D3F300B4 1ED2E994
	v_mfma_f32_16x16x32_fp8_fp8 v[180:183], a[150:151], a[118:119], v[180:183]// 0000000045F8: D3F300B4 1ED2ED96
	v_mfma_f32_16x16x32_fp8_fp8 v[216:219], a[152:153], a[112:113], v[216:219]// 000000004600: D3F300D8 1F62E198
	v_mfma_f32_16x16x32_fp8_fp8 v[216:219], a[154:155], a[114:115], v[216:219]// 000000004608: D3F300D8 1F62E59A
	v_mfma_f32_16x16x32_fp8_fp8 v[216:219], a[156:157], a[116:117], v[216:219]// 000000004610: D3F300D8 1F62E99C
	v_mfma_f32_16x16x32_fp8_fp8 v[216:219], a[158:159], a[118:119], v[216:219]// 000000004618: D3F300D8 1F62ED9E
	v_mfma_f32_16x16x32_fp8_fp8 v[184:187], a[144:145], a[120:121], v[184:187]// 000000004620: D3F300B8 1EE2F190
	v_mfma_f32_16x16x32_fp8_fp8 v[184:187], a[146:147], a[122:123], v[184:187]// 000000004628: D3F300B8 1EE2F592
	v_mfma_f32_16x16x32_fp8_fp8 v[184:187], a[148:149], a[124:125], v[184:187]// 000000004630: D3F300B8 1EE2F994
	v_mfma_f32_16x16x32_fp8_fp8 v[184:187], a[150:151], a[126:127], v[184:187]// 000000004638: D3F300B8 1EE2FD96
	v_mfma_f32_16x16x32_fp8_fp8 v[220:223], a[152:153], a[120:121], v[220:223]// 000000004640: D3F300DC 1F72F198
	v_mfma_f32_16x16x32_fp8_fp8 v[220:223], a[154:155], a[122:123], v[220:223]// 000000004648: D3F300DC 1F72F59A
	v_mfma_f32_16x16x32_fp8_fp8 v[220:223], a[156:157], a[124:125], v[220:223]// 000000004650: D3F300DC 1F72F99C
	v_mfma_f32_16x16x32_fp8_fp8 v[220:223], a[158:159], a[126:127], v[220:223]// 000000004658: D3F300DC 1F72FD9E
	v_mfma_f32_16x16x32_fp8_fp8 v[188:191], a[144:145], a[128:129], v[188:191]// 000000004660: D3F300BC 1EF30190
	v_mfma_f32_16x16x32_fp8_fp8 v[188:191], a[146:147], a[130:131], v[188:191]// 000000004668: D3F300BC 1EF30592
	v_mfma_f32_16x16x32_fp8_fp8 v[188:191], a[148:149], a[132:133], v[188:191]// 000000004670: D3F300BC 1EF30994
	v_mfma_f32_16x16x32_fp8_fp8 v[188:191], a[150:151], a[134:135], v[188:191]// 000000004678: D3F300BC 1EF30D96
	v_mfma_f32_16x16x32_fp8_fp8 v[224:227], a[152:153], a[128:129], v[224:227]// 000000004680: D3F300E0 1F830198
	v_mfma_f32_16x16x32_fp8_fp8 v[224:227], a[154:155], a[130:131], v[224:227]// 000000004688: D3F300E0 1F83059A
	v_mfma_f32_16x16x32_fp8_fp8 v[224:227], a[156:157], a[132:133], v[224:227]// 000000004690: D3F300E0 1F83099C
	v_mfma_f32_16x16x32_fp8_fp8 v[224:227], a[158:159], a[134:135], v[224:227]// 000000004698: D3F300E0 1F830D9E
	v_mfma_f32_16x16x32_fp8_fp8 v[192:195], a[144:145], a[136:137], v[192:195]// 0000000046A0: D3F300C0 1F031190
	s_add_u32 s60, 0x180, s80                                  // 0000000046A8: 803C50FF 00000180
	s_cmp_lt_u32 s60, s81                                      // 0000000046B0: BF0A513C
	s_cselect_b32 s57, s57, 0                                  // 0000000046B4: 85398039
	v_mfma_f32_16x16x32_fp8_fp8 v[192:195], a[146:147], a[138:139], v[192:195]// 0000000046B8: D3F300C0 1F031592
	s_add_u32 s60, 0x100, s80                                  // 0000000046C0: 803C50FF 00000100
	s_cmp_lt_u32 s60, s81                                      // 0000000046C8: BF0A513C
	s_cselect_b32 s58, s58, 0                                  // 0000000046CC: 853A803A
	v_mfma_f32_16x16x32_fp8_fp8 v[192:195], a[148:149], a[140:141], v[192:195]// 0000000046D0: D3F300C0 1F031994
	s_add_u32 s60, 0x100, s80                                  // 0000000046D8: 803C50FF 00000100
	s_cmp_lt_u32 s60, s81                                      // 0000000046E0: BF0A513C
	s_cselect_b32 s83, s83, 0                                  // 0000000046E4: 85538053
	v_mfma_f32_16x16x32_fp8_fp8 v[192:195], a[150:151], a[142:143], v[192:195]// 0000000046E8: D3F300C0 1F031D96
	s_add_u32 s24, s58, s24                                    // 0000000046F0: 8018183A
	s_addc_u32 s25, 0, s25                                     // 0000000046F4: 82191980
	v_mfma_f32_16x16x32_fp8_fp8 v[228:231], a[152:153], a[136:137], v[228:231]// 0000000046F8: D3F300E4 1F931198
	s_add_u32 s20, s57, s20                                    // 000000004700: 80141439
	s_addc_u32 s21, 0, s21                                     // 000000004704: 82151580
	v_mfma_f32_16x16x32_fp8_fp8 v[228:231], a[154:155], a[138:139], v[228:231]// 000000004708: D3F300E4 1F93159A
	s_add_u32 s84, s83, s84                                    // 000000004710: 80545453
	s_addc_u32 s85, 0, s85                                     // 000000004714: 82555580
	v_mfma_f32_16x16x32_fp8_fp8 v[228:231], a[156:157], a[140:141], v[228:231]// 000000004718: D3F300E4 1F93199C
	v_mfma_f32_16x16x32_fp8_fp8 v[228:231], a[158:159], a[142:143], v[228:231]// 000000004720: D3F300E4 1F931D9E
	s_addk_i32 s80, 0x80                                       // 000000004728: B7500080
	s_cmp_lt_i32 s80, s81                                      // 00000000472C: BF045150
	s_cbranch_scc0 label_0E1A                                  // 000000004730: BF8406CD
	s_waitcnt vmcnt(22) lgkmcnt(0)                             // 000000004734: BF8C4076
	v_mfma_f32_16x16x32_fp8_fp8 v[88:91], a[160:161], a[0:1], v[88:91]// 000000004738: D3F30058 1D6201A0
	v_mfma_f32_16x16x32_fp8_fp8 v[88:91], a[162:163], a[2:3], v[88:91]// 000000004740: D3F30058 1D6205A2
	buffer_load_dwordx4 a[144:147], v84, s[24:27], 0 offen     // 000000004748: E05C1000 80869054
	v_mfma_f32_16x16x32_fp8_fp8 v[88:91], a[164:165], a[4:5], v[88:91]// 000000004750: D3F30058 1D6209A4
	v_mfma_f32_16x16x32_fp8_fp8 v[88:91], a[166:167], a[6:7], v[88:91]// 000000004758: D3F30058 1D620DA6
	v_mfma_f32_16x16x32_fp8_fp8 v[124:127], a[168:169], a[0:1], v[124:127]// 000000004760: D3F3007C 1DF201A8
	v_mfma_f32_16x16x32_fp8_fp8 v[124:127], a[170:171], a[2:3], v[124:127]// 000000004768: D3F3007C 1DF205AA
	buffer_load_dwordx4 a[148:151], v84, s[24:27], 0 offen offset:1024// 000000004770: E05C1400 80869454
	v_mfma_f32_16x16x32_fp8_fp8 v[124:127], a[172:173], a[4:5], v[124:127]// 000000004778: D3F3007C 1DF209AC
	v_mfma_f32_16x16x32_fp8_fp8 v[124:127], a[174:175], a[6:7], v[124:127]// 000000004780: D3F3007C 1DF20DAE
	v_mfma_f32_16x16x32_fp8_fp8 v[92:95], a[160:161], a[8:9], v[92:95]// 000000004788: D3F3005C 1D7211A0
	v_mfma_f32_16x16x32_fp8_fp8 v[92:95], a[162:163], a[10:11], v[92:95]// 000000004790: D3F3005C 1D7215A2
	buffer_load_dwordx4 a[152:155], v85, s[24:27], 0 offen     // 000000004798: E05C1000 80869855
	v_mfma_f32_16x16x32_fp8_fp8 v[92:95], a[164:165], a[12:13], v[92:95]// 0000000047A0: D3F3005C 1D7219A4
	v_mfma_f32_16x16x32_fp8_fp8 v[92:95], a[166:167], a[14:15], v[92:95]// 0000000047A8: D3F3005C 1D721DA6
	v_mfma_f32_16x16x32_fp8_fp8 v[128:131], a[168:169], a[8:9], v[128:131]// 0000000047B0: D3F30080 1E0211A8
	v_mfma_f32_16x16x32_fp8_fp8 v[128:131], a[170:171], a[10:11], v[128:131]// 0000000047B8: D3F30080 1E0215AA
	buffer_load_dwordx4 a[156:159], v85, s[24:27], 0 offen offset:1024// 0000000047C0: E05C1400 80869C55
	buffer_load_dword v66, s[20:23], 0 offen lds               // 0000000047C8: E0511000 80050042
	s_add_u32 m0, 0x100, s49                                   // 0000000047D0: 807C31FF 00000100
	v_mfma_f32_16x16x32_fp8_fp8 v[128:131], a[172:173], a[12:13], v[128:131]// 0000000047D8: D3F30080 1E0219AC
	v_mfma_f32_16x16x32_fp8_fp8 v[128:131], a[174:175], a[14:15], v[128:131]// 0000000047E0: D3F30080 1E021DAE
	buffer_load_dword v67, s[20:23], 0 offen lds               // 0000000047E8: E0511000 80050043
	s_add_u32 m0, 0x200, s49                                   // 0000000047F0: 807C31FF 00000200
	v_mfma_f32_16x16x32_fp8_fp8 v[96:99], a[160:161], a[16:17], v[96:99]// 0000000047F8: D3F30060 1D8221A0
	v_mfma_f32_16x16x32_fp8_fp8 v[96:99], a[162:163], a[18:19], v[96:99]// 000000004800: D3F30060 1D8225A2
	buffer_load_dword v68, s[20:23], 0 offen lds               // 000000004808: E0511000 80050044
	s_add_u32 m0, 0x300, s49                                   // 000000004810: 807C31FF 00000300
	v_mfma_f32_16x16x32_fp8_fp8 v[96:99], a[164:165], a[20:21], v[96:99]// 000000004818: D3F30060 1D8229A4
	v_mfma_f32_16x16x32_fp8_fp8 v[96:99], a[166:167], a[22:23], v[96:99]// 000000004820: D3F30060 1D822DA6
	buffer_load_dword v69, s[20:23], 0 offen lds               // 000000004828: E0511000 80050045
	s_add_u32 m0, 0x400, s49                                   // 000000004830: 807C31FF 00000400
	v_mfma_f32_16x16x32_fp8_fp8 v[132:135], a[168:169], a[16:17], v[132:135]// 000000004838: D3F30084 1E1221A8
	v_mfma_f32_16x16x32_fp8_fp8 v[132:135], a[170:171], a[18:19], v[132:135]// 000000004840: D3F30084 1E1225AA
	buffer_load_dword v70, s[20:23], 0 offen lds               // 000000004848: E0511000 80050046
	s_add_u32 m0, 0x500, s49                                   // 000000004850: 807C31FF 00000500
	v_mfma_f32_16x16x32_fp8_fp8 v[132:135], a[172:173], a[20:21], v[132:135]// 000000004858: D3F30084 1E1229AC
	v_mfma_f32_16x16x32_fp8_fp8 v[132:135], a[174:175], a[22:23], v[132:135]// 000000004860: D3F30084 1E122DAE
	buffer_load_dword v71, s[20:23], 0 offen lds               // 000000004868: E0511000 80050047
	s_add_u32 m0, 0x600, s49                                   // 000000004870: 807C31FF 00000600
	v_mfma_f32_16x16x32_fp8_fp8 v[100:103], a[160:161], a[24:25], v[100:103]// 000000004878: D3F30064 1D9231A0
	v_mfma_f32_16x16x32_fp8_fp8 v[100:103], a[162:163], a[26:27], v[100:103]// 000000004880: D3F30064 1D9235A2
	buffer_load_dword v72, s[20:23], 0 offen lds               // 000000004888: E0511000 80050048
	s_add_u32 m0, 0x700, s49                                   // 000000004890: 807C31FF 00000700
	v_mfma_f32_16x16x32_fp8_fp8 v[100:103], a[164:165], a[28:29], v[100:103]// 000000004898: D3F30064 1D9239A4
	v_mfma_f32_16x16x32_fp8_fp8 v[100:103], a[166:167], a[30:31], v[100:103]// 0000000048A0: D3F30064 1D923DA6
	buffer_load_dword v73, s[20:23], 0 offen lds               // 0000000048A8: E0511000 80050049
	s_add_u32 m0, 0x800, s49                                   // 0000000048B0: 807C31FF 00000800
	v_mfma_f32_16x16x32_fp8_fp8 v[136:139], a[168:169], a[24:25], v[136:139]// 0000000048B8: D3F30088 1E2231A8
	v_mfma_f32_16x16x32_fp8_fp8 v[136:139], a[170:171], a[26:27], v[136:139]// 0000000048C0: D3F30088 1E2235AA
	buffer_load_dword v74, s[20:23], 0 offen lds               // 0000000048C8: E0511000 8005004A
	s_add_u32 m0, 0x900, s49                                   // 0000000048D0: 807C31FF 00000900
	v_mfma_f32_16x16x32_fp8_fp8 v[136:139], a[172:173], a[28:29], v[136:139]// 0000000048D8: D3F30088 1E2239AC
	v_mfma_f32_16x16x32_fp8_fp8 v[136:139], a[174:175], a[30:31], v[136:139]// 0000000048E0: D3F30088 1E223DAE
	buffer_load_dword v75, s[20:23], 0 offen lds               // 0000000048E8: E0511000 8005004B
	s_add_u32 m0, 0xa00, s49                                   // 0000000048F0: 807C31FF 00000A00
	v_mfma_f32_16x16x32_fp8_fp8 v[104:107], a[160:161], a[32:33], v[104:107]// 0000000048F8: D3F30068 1DA241A0
	v_mfma_f32_16x16x32_fp8_fp8 v[104:107], a[162:163], a[34:35], v[104:107]// 000000004900: D3F30068 1DA245A2
	buffer_load_dword v76, s[20:23], 0 offen lds               // 000000004908: E0511000 8005004C
	s_add_u32 m0, 0xb00, s49                                   // 000000004910: 807C31FF 00000B00
	v_mfma_f32_16x16x32_fp8_fp8 v[104:107], a[164:165], a[36:37], v[104:107]// 000000004918: D3F30068 1DA249A4
	v_mfma_f32_16x16x32_fp8_fp8 v[104:107], a[166:167], a[38:39], v[104:107]// 000000004920: D3F30068 1DA24DA6
	buffer_load_dword v77, s[20:23], 0 offen lds               // 000000004928: E0511000 8005004D
	s_add_u32 m0, 0xc00, s49                                   // 000000004930: 807C31FF 00000C00
	v_mfma_f32_16x16x32_fp8_fp8 v[140:143], a[168:169], a[32:33], v[140:143]// 000000004938: D3F3008C 1E3241A8
	v_mfma_f32_16x16x32_fp8_fp8 v[140:143], a[170:171], a[34:35], v[140:143]// 000000004940: D3F3008C 1E3245AA
	buffer_load_dword v78, s[20:23], 0 offen lds               // 000000004948: E0511000 8005004E
	s_add_u32 m0, 0xd00, s49                                   // 000000004950: 807C31FF 00000D00
	v_mfma_f32_16x16x32_fp8_fp8 v[140:143], a[172:173], a[36:37], v[140:143]// 000000004958: D3F3008C 1E3249AC
	v_mfma_f32_16x16x32_fp8_fp8 v[140:143], a[174:175], a[38:39], v[140:143]// 000000004960: D3F3008C 1E324DAE
	buffer_load_dword v79, s[20:23], 0 offen lds               // 000000004968: E0511000 8005004F
	s_add_u32 m0, 0xe00, s49                                   // 000000004970: 807C31FF 00000E00
	v_mfma_f32_16x16x32_fp8_fp8 v[108:111], a[160:161], a[40:41], v[108:111]// 000000004978: D3F3006C 1DB251A0
	v_mfma_f32_16x16x32_fp8_fp8 v[108:111], a[162:163], a[42:43], v[108:111]// 000000004980: D3F3006C 1DB255A2
	buffer_load_dword v80, s[20:23], 0 offen lds               // 000000004988: E0511000 80050050
	s_add_u32 m0, 0xf00, s49                                   // 000000004990: 807C31FF 00000F00
	v_mfma_f32_16x16x32_fp8_fp8 v[108:111], a[164:165], a[44:45], v[108:111]// 000000004998: D3F3006C 1DB259A4
	v_mfma_f32_16x16x32_fp8_fp8 v[108:111], a[166:167], a[46:47], v[108:111]// 0000000049A0: D3F3006C 1DB25DA6
	buffer_load_dword v81, s[20:23], 0 offen lds               // 0000000049A8: E0511000 80050051
	s_add_u32 m0, 0x1000, s49                                  // 0000000049B0: 807C31FF 00001000
	v_mfma_f32_16x16x32_fp8_fp8 v[144:147], a[168:169], a[40:41], v[144:147]// 0000000049B8: D3F30090 1E4251A8
	v_mfma_f32_16x16x32_fp8_fp8 v[144:147], a[170:171], a[42:43], v[144:147]// 0000000049C0: D3F30090 1E4255AA
	buffer_load_dword v82, s[20:23], 0 offen lds               // 0000000049C8: E0511000 80050052
	s_add_u32 m0, 0x1100, s49                                  // 0000000049D0: 807C31FF 00001100
	v_mfma_f32_16x16x32_fp8_fp8 v[144:147], a[172:173], a[44:45], v[144:147]// 0000000049D8: D3F30090 1E4259AC
	v_mfma_f32_16x16x32_fp8_fp8 v[144:147], a[174:175], a[46:47], v[144:147]// 0000000049E0: D3F30090 1E425DAE
	buffer_load_dword v83, s[20:23], 0 offen lds               // 0000000049E8: E0511000 80050053
	s_add_u32 m0, 0, s50                                       // 0000000049F0: 807C3280
	v_mfma_f32_16x16x32_fp8_fp8 v[112:115], a[160:161], a[48:49], v[112:115]// 0000000049F4: D3F30070 1DC261A0
	v_mfma_f32_16x16x32_fp8_fp8 v[112:115], a[162:163], a[50:51], v[112:115]// 0000000049FC: D3F30070 1DC265A2
	v_mfma_f32_16x16x32_fp8_fp8 v[112:115], a[164:165], a[52:53], v[112:115]// 000000004A04: D3F30070 1DC269A4
	v_mfma_f32_16x16x32_fp8_fp8 v[112:115], a[166:167], a[54:55], v[112:115]// 000000004A0C: D3F30070 1DC26DA6
	v_mfma_f32_16x16x32_fp8_fp8 v[148:151], a[168:169], a[48:49], v[148:151]// 000000004A14: D3F30094 1E5261A8
	v_mfma_f32_16x16x32_fp8_fp8 v[148:151], a[170:171], a[50:51], v[148:151]// 000000004A1C: D3F30094 1E5265AA
	v_mfma_f32_16x16x32_fp8_fp8 v[148:151], a[172:173], a[52:53], v[148:151]// 000000004A24: D3F30094 1E5269AC
	v_mfma_f32_16x16x32_fp8_fp8 v[148:151], a[174:175], a[54:55], v[148:151]// 000000004A2C: D3F30094 1E526DAE
	v_mfma_f32_16x16x32_fp8_fp8 v[116:119], a[160:161], a[56:57], v[116:119]// 000000004A34: D3F30074 1DD271A0
	v_mfma_f32_16x16x32_fp8_fp8 v[116:119], a[162:163], a[58:59], v[116:119]// 000000004A3C: D3F30074 1DD275A2
	v_mfma_f32_16x16x32_fp8_fp8 v[116:119], a[164:165], a[60:61], v[116:119]// 000000004A44: D3F30074 1DD279A4
	v_mfma_f32_16x16x32_fp8_fp8 v[116:119], a[166:167], a[62:63], v[116:119]// 000000004A4C: D3F30074 1DD27DA6
	v_mfma_f32_16x16x32_fp8_fp8 v[152:155], a[168:169], a[56:57], v[152:155]// 000000004A54: D3F30098 1E6271A8
	v_mfma_f32_16x16x32_fp8_fp8 v[152:155], a[170:171], a[58:59], v[152:155]// 000000004A5C: D3F30098 1E6275AA
	v_mfma_f32_16x16x32_fp8_fp8 v[152:155], a[172:173], a[60:61], v[152:155]// 000000004A64: D3F30098 1E6279AC
	v_mfma_f32_16x16x32_fp8_fp8 v[152:155], a[174:175], a[62:63], v[152:155]// 000000004A6C: D3F30098 1E627DAE
	v_mfma_f32_16x16x32_fp8_fp8 v[120:123], a[160:161], a[64:65], v[120:123]// 000000004A74: D3F30078 1DE281A0
	v_mfma_f32_16x16x32_fp8_fp8 v[120:123], a[162:163], a[66:67], v[120:123]// 000000004A7C: D3F30078 1DE285A2
	v_mfma_f32_16x16x32_fp8_fp8 v[120:123], a[164:165], a[68:69], v[120:123]// 000000004A84: D3F30078 1DE289A4
	v_mfma_f32_16x16x32_fp8_fp8 v[120:123], a[166:167], a[70:71], v[120:123]// 000000004A8C: D3F30078 1DE28DA6
	v_mfma_f32_16x16x32_fp8_fp8 v[156:159], a[168:169], a[64:65], v[156:159]// 000000004A94: D3F3009C 1E7281A8
	v_mfma_f32_16x16x32_fp8_fp8 v[156:159], a[170:171], a[66:67], v[156:159]// 000000004A9C: D3F3009C 1E7285AA
	v_mfma_f32_16x16x32_fp8_fp8 v[156:159], a[172:173], a[68:69], v[156:159]// 000000004AA4: D3F3009C 1E7289AC
	v_mfma_f32_16x16x32_fp8_fp8 v[156:159], a[174:175], a[70:71], v[156:159]// 000000004AAC: D3F3009C 1E728DAE
	s_waitcnt vmcnt(22)                                        // 000000004AB4: BF8C4F76
	s_barrier                                                  // 000000004AB8: BF8A0000
	v_mfma_f32_16x16x32_fp8_fp8 v[160:163], a[176:177], a[0:1], v[160:163]// 000000004ABC: D3F300A0 1E8201B0
	v_mfma_f32_16x16x32_fp8_fp8 v[160:163], a[178:179], a[2:3], v[160:163]// 000000004AC4: D3F300A0 1E8205B2
	buffer_load_dwordx4 a[160:163], v84, s[84:87], 0 offen     // 000000004ACC: E05C1000 8095A054
	v_mfma_f32_16x16x32_fp8_fp8 v[160:163], a[180:181], a[4:5], v[160:163]// 000000004AD4: D3F300A0 1E8209B4
	v_mfma_f32_16x16x32_fp8_fp8 v[160:163], a[182:183], a[6:7], v[160:163]// 000000004ADC: D3F300A0 1E820DB6
	ds_read_b128 a[72:75], v2                                  // 000000004AE4: DBFE0000 48000002
	ds_read_b128 a[76:79], v2 offset:64                        // 000000004AEC: DBFE0040 4C000002
	v_mfma_f32_16x16x32_fp8_fp8 v[196:199], a[184:185], a[0:1], v[196:199]// 000000004AF4: D3F300C4 1F1201B8
	v_mfma_f32_16x16x32_fp8_fp8 v[196:199], a[186:187], a[2:3], v[196:199]// 000000004AFC: D3F300C4 1F1205BA
	buffer_load_dwordx4 a[164:167], v84, s[84:87], 0 offen offset:1024// 000000004B04: E05C1400 8095A454
	v_mfma_f32_16x16x32_fp8_fp8 v[196:199], a[188:189], a[4:5], v[196:199]// 000000004B0C: D3F300C4 1F1209BC
	v_mfma_f32_16x16x32_fp8_fp8 v[196:199], a[190:191], a[6:7], v[196:199]// 000000004B14: D3F300C4 1F120DBE
	ds_read_b128 a[80:83], v2 offset:512                       // 000000004B1C: DBFE0200 50000002
	ds_read_b128 a[84:87], v2 offset:576                       // 000000004B24: DBFE0240 54000002
	v_mfma_f32_16x16x32_fp8_fp8 v[164:167], a[176:177], a[8:9], v[164:167]// 000000004B2C: D3F300A4 1E9211B0
	v_mfma_f32_16x16x32_fp8_fp8 v[164:167], a[178:179], a[10:11], v[164:167]// 000000004B34: D3F300A4 1E9215B2
	buffer_load_dwordx4 a[168:171], v85, s[84:87], 0 offen     // 000000004B3C: E05C1000 8095A855
	v_mfma_f32_16x16x32_fp8_fp8 v[164:167], a[180:181], a[12:13], v[164:167]// 000000004B44: D3F300A4 1E9219B4
	v_mfma_f32_16x16x32_fp8_fp8 v[164:167], a[182:183], a[14:15], v[164:167]// 000000004B4C: D3F300A4 1E921DB6
	ds_read_b128 a[88:91], v2 offset:1024                      // 000000004B54: DBFE0400 58000002
	ds_read_b128 a[92:95], v2 offset:1088                      // 000000004B5C: DBFE0440 5C000002
	v_mfma_f32_16x16x32_fp8_fp8 v[200:203], a[184:185], a[8:9], v[200:203]// 000000004B64: D3F300C8 1F2211B8
	v_mfma_f32_16x16x32_fp8_fp8 v[200:203], a[186:187], a[10:11], v[200:203]// 000000004B6C: D3F300C8 1F2215BA
	buffer_load_dwordx4 a[172:175], v85, s[84:87], 0 offen offset:1024// 000000004B74: E05C1400 8095AC55
	v_mfma_f32_16x16x32_fp8_fp8 v[200:203], a[188:189], a[12:13], v[200:203]// 000000004B7C: D3F300C8 1F2219BC
	v_mfma_f32_16x16x32_fp8_fp8 v[200:203], a[190:191], a[14:15], v[200:203]// 000000004B84: D3F300C8 1F221DBE
	ds_read_b128 a[96:99], v2 offset:1536                      // 000000004B8C: DBFE0600 60000002
	ds_read_b128 a[100:103], v2 offset:1600                    // 000000004B94: DBFE0640 64000002
	v_mfma_f32_16x16x32_fp8_fp8 v[168:171], a[176:177], a[16:17], v[168:171]// 000000004B9C: D3F300A8 1EA221B0
	v_mfma_f32_16x16x32_fp8_fp8 v[168:171], a[178:179], a[18:19], v[168:171]// 000000004BA4: D3F300A8 1EA225B2
	v_mfma_f32_16x16x32_fp8_fp8 v[168:171], a[180:181], a[20:21], v[168:171]// 000000004BAC: D3F300A8 1EA229B4
	v_mfma_f32_16x16x32_fp8_fp8 v[168:171], a[182:183], a[22:23], v[168:171]// 000000004BB4: D3F300A8 1EA22DB6
	ds_read_b128 a[104:107], v2 offset:2048                    // 000000004BBC: DBFE0800 68000002
	ds_read_b128 a[108:111], v2 offset:2112                    // 000000004BC4: DBFE0840 6C000002
	v_mfma_f32_16x16x32_fp8_fp8 v[204:207], a[184:185], a[16:17], v[204:207]// 000000004BCC: D3F300CC 1F3221B8
	v_mfma_f32_16x16x32_fp8_fp8 v[204:207], a[186:187], a[18:19], v[204:207]// 000000004BD4: D3F300CC 1F3225BA
	v_mfma_f32_16x16x32_fp8_fp8 v[204:207], a[188:189], a[20:21], v[204:207]// 000000004BDC: D3F300CC 1F3229BC
	v_mfma_f32_16x16x32_fp8_fp8 v[204:207], a[190:191], a[22:23], v[204:207]// 000000004BE4: D3F300CC 1F322DBE
	ds_read_b128 a[112:115], v2 offset:2560                    // 000000004BEC: DBFE0A00 70000002
	ds_read_b128 a[116:119], v2 offset:2624                    // 000000004BF4: DBFE0A40 74000002
	v_mfma_f32_16x16x32_fp8_fp8 v[172:175], a[176:177], a[24:25], v[172:175]// 000000004BFC: D3F300AC 1EB231B0
	v_mfma_f32_16x16x32_fp8_fp8 v[172:175], a[178:179], a[26:27], v[172:175]// 000000004C04: D3F300AC 1EB235B2
	v_mfma_f32_16x16x32_fp8_fp8 v[172:175], a[180:181], a[28:29], v[172:175]// 000000004C0C: D3F300AC 1EB239B4
	v_mfma_f32_16x16x32_fp8_fp8 v[172:175], a[182:183], a[30:31], v[172:175]// 000000004C14: D3F300AC 1EB23DB6
	ds_read_b128 a[120:123], v2 offset:3072                    // 000000004C1C: DBFE0C00 78000002
	ds_read_b128 a[124:127], v2 offset:3136                    // 000000004C24: DBFE0C40 7C000002
	v_mfma_f32_16x16x32_fp8_fp8 v[208:211], a[184:185], a[24:25], v[208:211]// 000000004C2C: D3F300D0 1F4231B8
	v_mfma_f32_16x16x32_fp8_fp8 v[208:211], a[186:187], a[26:27], v[208:211]// 000000004C34: D3F300D0 1F4235BA
	v_mfma_f32_16x16x32_fp8_fp8 v[208:211], a[188:189], a[28:29], v[208:211]// 000000004C3C: D3F300D0 1F4239BC
	v_mfma_f32_16x16x32_fp8_fp8 v[208:211], a[190:191], a[30:31], v[208:211]// 000000004C44: D3F300D0 1F423DBE
	ds_read_b128 a[128:131], v2 offset:3584                    // 000000004C4C: DBFE0E00 80000002
	ds_read_b128 a[132:135], v2 offset:3648                    // 000000004C54: DBFE0E40 84000002
	v_mfma_f32_16x16x32_fp8_fp8 v[176:179], a[176:177], a[32:33], v[176:179]// 000000004C5C: D3F300B0 1EC241B0
	v_mfma_f32_16x16x32_fp8_fp8 v[176:179], a[178:179], a[34:35], v[176:179]// 000000004C64: D3F300B0 1EC245B2
	v_mfma_f32_16x16x32_fp8_fp8 v[176:179], a[180:181], a[36:37], v[176:179]// 000000004C6C: D3F300B0 1EC249B4
	v_mfma_f32_16x16x32_fp8_fp8 v[176:179], a[182:183], a[38:39], v[176:179]// 000000004C74: D3F300B0 1EC24DB6
	ds_read_b128 a[136:139], v2 offset:4096                    // 000000004C7C: DBFE1000 88000002
	ds_read_b128 a[140:143], v2 offset:4160                    // 000000004C84: DBFE1040 8C000002
	v_mfma_f32_16x16x32_fp8_fp8 v[212:215], a[184:185], a[32:33], v[212:215]// 000000004C8C: D3F300D4 1F5241B8
	v_mfma_f32_16x16x32_fp8_fp8 v[212:215], a[186:187], a[34:35], v[212:215]// 000000004C94: D3F300D4 1F5245BA
	v_mfma_f32_16x16x32_fp8_fp8 v[212:215], a[188:189], a[36:37], v[212:215]// 000000004C9C: D3F300D4 1F5249BC
	v_mfma_f32_16x16x32_fp8_fp8 v[212:215], a[190:191], a[38:39], v[212:215]// 000000004CA4: D3F300D4 1F524DBE
	v_mfma_f32_16x16x32_fp8_fp8 v[180:183], a[176:177], a[40:41], v[180:183]// 000000004CAC: D3F300B4 1ED251B0
	v_mfma_f32_16x16x32_fp8_fp8 v[180:183], a[178:179], a[42:43], v[180:183]// 000000004CB4: D3F300B4 1ED255B2
	v_mfma_f32_16x16x32_fp8_fp8 v[180:183], a[180:181], a[44:45], v[180:183]// 000000004CBC: D3F300B4 1ED259B4
	v_mfma_f32_16x16x32_fp8_fp8 v[180:183], a[182:183], a[46:47], v[180:183]// 000000004CC4: D3F300B4 1ED25DB6
	v_mfma_f32_16x16x32_fp8_fp8 v[216:219], a[184:185], a[40:41], v[216:219]// 000000004CCC: D3F300D8 1F6251B8
	v_mfma_f32_16x16x32_fp8_fp8 v[216:219], a[186:187], a[42:43], v[216:219]// 000000004CD4: D3F300D8 1F6255BA
	v_mfma_f32_16x16x32_fp8_fp8 v[216:219], a[188:189], a[44:45], v[216:219]// 000000004CDC: D3F300D8 1F6259BC
	v_mfma_f32_16x16x32_fp8_fp8 v[216:219], a[190:191], a[46:47], v[216:219]// 000000004CE4: D3F300D8 1F625DBE
	v_mfma_f32_16x16x32_fp8_fp8 v[184:187], a[176:177], a[48:49], v[184:187]// 000000004CEC: D3F300B8 1EE261B0
	v_mfma_f32_16x16x32_fp8_fp8 v[184:187], a[178:179], a[50:51], v[184:187]// 000000004CF4: D3F300B8 1EE265B2
	v_mfma_f32_16x16x32_fp8_fp8 v[184:187], a[180:181], a[52:53], v[184:187]// 000000004CFC: D3F300B8 1EE269B4
	v_mfma_f32_16x16x32_fp8_fp8 v[184:187], a[182:183], a[54:55], v[184:187]// 000000004D04: D3F300B8 1EE26DB6
	v_mfma_f32_16x16x32_fp8_fp8 v[220:223], a[184:185], a[48:49], v[220:223]// 000000004D0C: D3F300DC 1F7261B8
	v_mfma_f32_16x16x32_fp8_fp8 v[220:223], a[186:187], a[50:51], v[220:223]// 000000004D14: D3F300DC 1F7265BA
	v_mfma_f32_16x16x32_fp8_fp8 v[220:223], a[188:189], a[52:53], v[220:223]// 000000004D1C: D3F300DC 1F7269BC
	v_mfma_f32_16x16x32_fp8_fp8 v[220:223], a[190:191], a[54:55], v[220:223]// 000000004D24: D3F300DC 1F726DBE
	v_mfma_f32_16x16x32_fp8_fp8 v[188:191], a[176:177], a[56:57], v[188:191]// 000000004D2C: D3F300BC 1EF271B0
	v_mfma_f32_16x16x32_fp8_fp8 v[188:191], a[178:179], a[58:59], v[188:191]// 000000004D34: D3F300BC 1EF275B2
	v_mfma_f32_16x16x32_fp8_fp8 v[188:191], a[180:181], a[60:61], v[188:191]// 000000004D3C: D3F300BC 1EF279B4
	v_mfma_f32_16x16x32_fp8_fp8 v[188:191], a[182:183], a[62:63], v[188:191]// 000000004D44: D3F300BC 1EF27DB6
	v_mfma_f32_16x16x32_fp8_fp8 v[224:227], a[184:185], a[56:57], v[224:227]// 000000004D4C: D3F300E0 1F8271B8
	v_mfma_f32_16x16x32_fp8_fp8 v[224:227], a[186:187], a[58:59], v[224:227]// 000000004D54: D3F300E0 1F8275BA
	v_mfma_f32_16x16x32_fp8_fp8 v[224:227], a[188:189], a[60:61], v[224:227]// 000000004D5C: D3F300E0 1F8279BC
	v_mfma_f32_16x16x32_fp8_fp8 v[224:227], a[190:191], a[62:63], v[224:227]// 000000004D64: D3F300E0 1F827DBE
	v_mfma_f32_16x16x32_fp8_fp8 v[192:195], a[176:177], a[64:65], v[192:195]// 000000004D6C: D3F300C0 1F0281B0
	s_add_u32 s60, 0x180, s80                                  // 000000004D74: 803C50FF 00000180
	s_cmp_lt_u32 s60, s81                                      // 000000004D7C: BF0A513C
	s_cselect_b32 s57, s57, 0                                  // 000000004D80: 85398039
	v_mfma_f32_16x16x32_fp8_fp8 v[192:195], a[178:179], a[66:67], v[192:195]// 000000004D84: D3F300C0 1F0285B2
	s_add_u32 s60, 0x100, s80                                  // 000000004D8C: 803C50FF 00000100
	s_cmp_lt_u32 s60, s81                                      // 000000004D94: BF0A513C
	s_cselect_b32 s58, s58, 0                                  // 000000004D98: 853A803A
	v_mfma_f32_16x16x32_fp8_fp8 v[192:195], a[180:181], a[68:69], v[192:195]// 000000004D9C: D3F300C0 1F0289B4
	s_add_u32 s60, 0x100, s80                                  // 000000004DA4: 803C50FF 00000100
	s_cmp_lt_u32 s60, s81                                      // 000000004DAC: BF0A513C
	s_cselect_b32 s83, s83, 0                                  // 000000004DB0: 85538053
	v_mfma_f32_16x16x32_fp8_fp8 v[192:195], a[182:183], a[70:71], v[192:195]// 000000004DB4: D3F300C0 1F028DB6
	s_add_u32 s24, s58, s24                                    // 000000004DBC: 8018183A
	s_addc_u32 s25, 0, s25                                     // 000000004DC0: 82191980
	v_mfma_f32_16x16x32_fp8_fp8 v[228:231], a[184:185], a[64:65], v[228:231]// 000000004DC4: D3F300E4 1F9281B8
	s_add_u32 s20, s57, s20                                    // 000000004DCC: 80141439
	s_addc_u32 s21, 0, s21                                     // 000000004DD0: 82151580
	v_mfma_f32_16x16x32_fp8_fp8 v[228:231], a[186:187], a[66:67], v[228:231]// 000000004DD4: D3F300E4 1F9285BA
	s_add_u32 s84, s83, s84                                    // 000000004DDC: 80545453
	s_addc_u32 s85, 0, s85                                     // 000000004DE0: 82555580
	v_mfma_f32_16x16x32_fp8_fp8 v[228:231], a[188:189], a[68:69], v[228:231]// 000000004DE4: D3F300E4 1F9289BC
	v_mfma_f32_16x16x32_fp8_fp8 v[228:231], a[190:191], a[70:71], v[228:231]// 000000004DEC: D3F300E4 1F928DBE
	s_addk_i32 s80, 0x80                                       // 000000004DF4: B7500080
	s_cmp_lt_i32 s80, s81                                      // 000000004DF8: BF045150
	s_cbranch_scc0 label_0E1A                                  // 000000004DFC: BF84051A
	s_waitcnt vmcnt(22) lgkmcnt(0)                             // 000000004E00: BF8C4076
	v_mfma_f32_16x16x32_fp8_fp8 v[88:91], a[144:145], a[72:73], v[88:91]// 000000004E04: D3F30058 1D629190
	v_mfma_f32_16x16x32_fp8_fp8 v[88:91], a[146:147], a[74:75], v[88:91]// 000000004E0C: D3F30058 1D629592
	buffer_load_dwordx4 a[176:179], v84, s[24:27], 0 offen     // 000000004E14: E05C1000 8086B054
	v_mfma_f32_16x16x32_fp8_fp8 v[88:91], a[148:149], a[76:77], v[88:91]// 000000004E1C: D3F30058 1D629994
	v_mfma_f32_16x16x32_fp8_fp8 v[88:91], a[150:151], a[78:79], v[88:91]// 000000004E24: D3F30058 1D629D96
	v_mfma_f32_16x16x32_fp8_fp8 v[124:127], a[152:153], a[72:73], v[124:127]// 000000004E2C: D3F3007C 1DF29198
	v_mfma_f32_16x16x32_fp8_fp8 v[124:127], a[154:155], a[74:75], v[124:127]// 000000004E34: D3F3007C 1DF2959A
	buffer_load_dwordx4 a[180:183], v84, s[24:27], 0 offen offset:1024// 000000004E3C: E05C1400 8086B454
	v_mfma_f32_16x16x32_fp8_fp8 v[124:127], a[156:157], a[76:77], v[124:127]// 000000004E44: D3F3007C 1DF2999C
	v_mfma_f32_16x16x32_fp8_fp8 v[124:127], a[158:159], a[78:79], v[124:127]// 000000004E4C: D3F3007C 1DF29D9E
	v_mfma_f32_16x16x32_fp8_fp8 v[92:95], a[144:145], a[80:81], v[92:95]// 000000004E54: D3F3005C 1D72A190
	v_mfma_f32_16x16x32_fp8_fp8 v[92:95], a[146:147], a[82:83], v[92:95]// 000000004E5C: D3F3005C 1D72A592
	buffer_load_dwordx4 a[184:187], v85, s[24:27], 0 offen     // 000000004E64: E05C1000 8086B855
	v_mfma_f32_16x16x32_fp8_fp8 v[92:95], a[148:149], a[84:85], v[92:95]// 000000004E6C: D3F3005C 1D72A994
	v_mfma_f32_16x16x32_fp8_fp8 v[92:95], a[150:151], a[86:87], v[92:95]// 000000004E74: D3F3005C 1D72AD96
	v_mfma_f32_16x16x32_fp8_fp8 v[128:131], a[152:153], a[80:81], v[128:131]// 000000004E7C: D3F30080 1E02A198
	v_mfma_f32_16x16x32_fp8_fp8 v[128:131], a[154:155], a[82:83], v[128:131]// 000000004E84: D3F30080 1E02A59A
	buffer_load_dwordx4 a[188:191], v85, s[24:27], 0 offen offset:1024// 000000004E8C: E05C1400 8086BC55
	buffer_load_dword v66, s[20:23], 0 offen lds               // 000000004E94: E0511000 80050042
	s_add_u32 m0, 0x100, s50                                   // 000000004E9C: 807C32FF 00000100
	v_mfma_f32_16x16x32_fp8_fp8 v[128:131], a[156:157], a[84:85], v[128:131]// 000000004EA4: D3F30080 1E02A99C
	v_mfma_f32_16x16x32_fp8_fp8 v[128:131], a[158:159], a[86:87], v[128:131]// 000000004EAC: D3F30080 1E02AD9E
	buffer_load_dword v67, s[20:23], 0 offen lds               // 000000004EB4: E0511000 80050043
	s_add_u32 m0, 0x200, s50                                   // 000000004EBC: 807C32FF 00000200
	v_mfma_f32_16x16x32_fp8_fp8 v[96:99], a[144:145], a[88:89], v[96:99]// 000000004EC4: D3F30060 1D82B190
	v_mfma_f32_16x16x32_fp8_fp8 v[96:99], a[146:147], a[90:91], v[96:99]// 000000004ECC: D3F30060 1D82B592
	buffer_load_dword v68, s[20:23], 0 offen lds               // 000000004ED4: E0511000 80050044
	s_add_u32 m0, 0x300, s50                                   // 000000004EDC: 807C32FF 00000300
	v_mfma_f32_16x16x32_fp8_fp8 v[96:99], a[148:149], a[92:93], v[96:99]// 000000004EE4: D3F30060 1D82B994
	v_mfma_f32_16x16x32_fp8_fp8 v[96:99], a[150:151], a[94:95], v[96:99]// 000000004EEC: D3F30060 1D82BD96
	buffer_load_dword v69, s[20:23], 0 offen lds               // 000000004EF4: E0511000 80050045
	s_add_u32 m0, 0x400, s50                                   // 000000004EFC: 807C32FF 00000400
	v_mfma_f32_16x16x32_fp8_fp8 v[132:135], a[152:153], a[88:89], v[132:135]// 000000004F04: D3F30084 1E12B198
	v_mfma_f32_16x16x32_fp8_fp8 v[132:135], a[154:155], a[90:91], v[132:135]// 000000004F0C: D3F30084 1E12B59A
	buffer_load_dword v70, s[20:23], 0 offen lds               // 000000004F14: E0511000 80050046
	s_add_u32 m0, 0x500, s50                                   // 000000004F1C: 807C32FF 00000500
	v_mfma_f32_16x16x32_fp8_fp8 v[132:135], a[156:157], a[92:93], v[132:135]// 000000004F24: D3F30084 1E12B99C
	v_mfma_f32_16x16x32_fp8_fp8 v[132:135], a[158:159], a[94:95], v[132:135]// 000000004F2C: D3F30084 1E12BD9E
	buffer_load_dword v71, s[20:23], 0 offen lds               // 000000004F34: E0511000 80050047
	s_add_u32 m0, 0x600, s50                                   // 000000004F3C: 807C32FF 00000600
	v_mfma_f32_16x16x32_fp8_fp8 v[100:103], a[144:145], a[96:97], v[100:103]// 000000004F44: D3F30064 1D92C190
	v_mfma_f32_16x16x32_fp8_fp8 v[100:103], a[146:147], a[98:99], v[100:103]// 000000004F4C: D3F30064 1D92C592
	buffer_load_dword v72, s[20:23], 0 offen lds               // 000000004F54: E0511000 80050048
	s_add_u32 m0, 0x700, s50                                   // 000000004F5C: 807C32FF 00000700
	v_mfma_f32_16x16x32_fp8_fp8 v[100:103], a[148:149], a[100:101], v[100:103]// 000000004F64: D3F30064 1D92C994
	v_mfma_f32_16x16x32_fp8_fp8 v[100:103], a[150:151], a[102:103], v[100:103]// 000000004F6C: D3F30064 1D92CD96
	buffer_load_dword v73, s[20:23], 0 offen lds               // 000000004F74: E0511000 80050049
	s_add_u32 m0, 0x800, s50                                   // 000000004F7C: 807C32FF 00000800
	v_mfma_f32_16x16x32_fp8_fp8 v[136:139], a[152:153], a[96:97], v[136:139]// 000000004F84: D3F30088 1E22C198
	v_mfma_f32_16x16x32_fp8_fp8 v[136:139], a[154:155], a[98:99], v[136:139]// 000000004F8C: D3F30088 1E22C59A
	buffer_load_dword v74, s[20:23], 0 offen lds               // 000000004F94: E0511000 8005004A
	s_add_u32 m0, 0x900, s50                                   // 000000004F9C: 807C32FF 00000900
	v_mfma_f32_16x16x32_fp8_fp8 v[136:139], a[156:157], a[100:101], v[136:139]// 000000004FA4: D3F30088 1E22C99C
	v_mfma_f32_16x16x32_fp8_fp8 v[136:139], a[158:159], a[102:103], v[136:139]// 000000004FAC: D3F30088 1E22CD9E
	buffer_load_dword v75, s[20:23], 0 offen lds               // 000000004FB4: E0511000 8005004B
	s_add_u32 m0, 0xa00, s50                                   // 000000004FBC: 807C32FF 00000A00
	v_mfma_f32_16x16x32_fp8_fp8 v[104:107], a[144:145], a[104:105], v[104:107]// 000000004FC4: D3F30068 1DA2D190
	v_mfma_f32_16x16x32_fp8_fp8 v[104:107], a[146:147], a[106:107], v[104:107]// 000000004FCC: D3F30068 1DA2D592
	buffer_load_dword v76, s[20:23], 0 offen lds               // 000000004FD4: E0511000 8005004C
	s_add_u32 m0, 0xb00, s50                                   // 000000004FDC: 807C32FF 00000B00
	v_mfma_f32_16x16x32_fp8_fp8 v[104:107], a[148:149], a[108:109], v[104:107]// 000000004FE4: D3F30068 1DA2D994
	v_mfma_f32_16x16x32_fp8_fp8 v[104:107], a[150:151], a[110:111], v[104:107]// 000000004FEC: D3F30068 1DA2DD96
	buffer_load_dword v77, s[20:23], 0 offen lds               // 000000004FF4: E0511000 8005004D
	s_add_u32 m0, 0xc00, s50                                   // 000000004FFC: 807C32FF 00000C00
	v_mfma_f32_16x16x32_fp8_fp8 v[140:143], a[152:153], a[104:105], v[140:143]// 000000005004: D3F3008C 1E32D198
	v_mfma_f32_16x16x32_fp8_fp8 v[140:143], a[154:155], a[106:107], v[140:143]// 00000000500C: D3F3008C 1E32D59A
	buffer_load_dword v78, s[20:23], 0 offen lds               // 000000005014: E0511000 8005004E
	s_add_u32 m0, 0xd00, s50                                   // 00000000501C: 807C32FF 00000D00
	v_mfma_f32_16x16x32_fp8_fp8 v[140:143], a[156:157], a[108:109], v[140:143]// 000000005024: D3F3008C 1E32D99C
	v_mfma_f32_16x16x32_fp8_fp8 v[140:143], a[158:159], a[110:111], v[140:143]// 00000000502C: D3F3008C 1E32DD9E
	buffer_load_dword v79, s[20:23], 0 offen lds               // 000000005034: E0511000 8005004F
	s_add_u32 m0, 0xe00, s50                                   // 00000000503C: 807C32FF 00000E00
	v_mfma_f32_16x16x32_fp8_fp8 v[108:111], a[144:145], a[112:113], v[108:111]// 000000005044: D3F3006C 1DB2E190
	v_mfma_f32_16x16x32_fp8_fp8 v[108:111], a[146:147], a[114:115], v[108:111]// 00000000504C: D3F3006C 1DB2E592
	buffer_load_dword v80, s[20:23], 0 offen lds               // 000000005054: E0511000 80050050
	s_add_u32 m0, 0xf00, s50                                   // 00000000505C: 807C32FF 00000F00
	v_mfma_f32_16x16x32_fp8_fp8 v[108:111], a[148:149], a[116:117], v[108:111]// 000000005064: D3F3006C 1DB2E994
	v_mfma_f32_16x16x32_fp8_fp8 v[108:111], a[150:151], a[118:119], v[108:111]// 00000000506C: D3F3006C 1DB2ED96
	buffer_load_dword v81, s[20:23], 0 offen lds               // 000000005074: E0511000 80050051
	s_add_u32 m0, 0x1000, s50                                  // 00000000507C: 807C32FF 00001000
	v_mfma_f32_16x16x32_fp8_fp8 v[144:147], a[152:153], a[112:113], v[144:147]// 000000005084: D3F30090 1E42E198
	v_mfma_f32_16x16x32_fp8_fp8 v[144:147], a[154:155], a[114:115], v[144:147]// 00000000508C: D3F30090 1E42E59A
	buffer_load_dword v82, s[20:23], 0 offen lds               // 000000005094: E0511000 80050052
	s_add_u32 m0, 0x1100, s50                                  // 00000000509C: 807C32FF 00001100
	v_mfma_f32_16x16x32_fp8_fp8 v[144:147], a[156:157], a[116:117], v[144:147]// 0000000050A4: D3F30090 1E42E99C
	v_mfma_f32_16x16x32_fp8_fp8 v[144:147], a[158:159], a[118:119], v[144:147]// 0000000050AC: D3F30090 1E42ED9E
	buffer_load_dword v83, s[20:23], 0 offen lds               // 0000000050B4: E0511000 80050053
	s_add_u32 m0, 0, s48                                       // 0000000050BC: 807C3080
	v_mfma_f32_16x16x32_fp8_fp8 v[112:115], a[144:145], a[120:121], v[112:115]// 0000000050C0: D3F30070 1DC2F190
	v_mfma_f32_16x16x32_fp8_fp8 v[112:115], a[146:147], a[122:123], v[112:115]// 0000000050C8: D3F30070 1DC2F592
	v_mfma_f32_16x16x32_fp8_fp8 v[112:115], a[148:149], a[124:125], v[112:115]// 0000000050D0: D3F30070 1DC2F994
	v_mfma_f32_16x16x32_fp8_fp8 v[112:115], a[150:151], a[126:127], v[112:115]// 0000000050D8: D3F30070 1DC2FD96
	v_mfma_f32_16x16x32_fp8_fp8 v[148:151], a[152:153], a[120:121], v[148:151]// 0000000050E0: D3F30094 1E52F198
	v_mfma_f32_16x16x32_fp8_fp8 v[148:151], a[154:155], a[122:123], v[148:151]// 0000000050E8: D3F30094 1E52F59A
	v_mfma_f32_16x16x32_fp8_fp8 v[148:151], a[156:157], a[124:125], v[148:151]// 0000000050F0: D3F30094 1E52F99C
	v_mfma_f32_16x16x32_fp8_fp8 v[148:151], a[158:159], a[126:127], v[148:151]// 0000000050F8: D3F30094 1E52FD9E
	v_mfma_f32_16x16x32_fp8_fp8 v[116:119], a[144:145], a[128:129], v[116:119]// 000000005100: D3F30074 1DD30190
	v_mfma_f32_16x16x32_fp8_fp8 v[116:119], a[146:147], a[130:131], v[116:119]// 000000005108: D3F30074 1DD30592
	v_mfma_f32_16x16x32_fp8_fp8 v[116:119], a[148:149], a[132:133], v[116:119]// 000000005110: D3F30074 1DD30994
	v_mfma_f32_16x16x32_fp8_fp8 v[116:119], a[150:151], a[134:135], v[116:119]// 000000005118: D3F30074 1DD30D96
	v_mfma_f32_16x16x32_fp8_fp8 v[152:155], a[152:153], a[128:129], v[152:155]// 000000005120: D3F30098 1E630198
	v_mfma_f32_16x16x32_fp8_fp8 v[152:155], a[154:155], a[130:131], v[152:155]// 000000005128: D3F30098 1E63059A
	v_mfma_f32_16x16x32_fp8_fp8 v[152:155], a[156:157], a[132:133], v[152:155]// 000000005130: D3F30098 1E63099C
	v_mfma_f32_16x16x32_fp8_fp8 v[152:155], a[158:159], a[134:135], v[152:155]// 000000005138: D3F30098 1E630D9E
	v_mfma_f32_16x16x32_fp8_fp8 v[120:123], a[144:145], a[136:137], v[120:123]// 000000005140: D3F30078 1DE31190
	v_mfma_f32_16x16x32_fp8_fp8 v[120:123], a[146:147], a[138:139], v[120:123]// 000000005148: D3F30078 1DE31592
	v_mfma_f32_16x16x32_fp8_fp8 v[120:123], a[148:149], a[140:141], v[120:123]// 000000005150: D3F30078 1DE31994
	v_mfma_f32_16x16x32_fp8_fp8 v[120:123], a[150:151], a[142:143], v[120:123]// 000000005158: D3F30078 1DE31D96
	v_mfma_f32_16x16x32_fp8_fp8 v[156:159], a[152:153], a[136:137], v[156:159]// 000000005160: D3F3009C 1E731198
	v_mfma_f32_16x16x32_fp8_fp8 v[156:159], a[154:155], a[138:139], v[156:159]// 000000005168: D3F3009C 1E73159A
	v_mfma_f32_16x16x32_fp8_fp8 v[156:159], a[156:157], a[140:141], v[156:159]// 000000005170: D3F3009C 1E73199C
	v_mfma_f32_16x16x32_fp8_fp8 v[156:159], a[158:159], a[142:143], v[156:159]// 000000005178: D3F3009C 1E731D9E
	s_waitcnt vmcnt(22)                                        // 000000005180: BF8C4F76
	s_barrier                                                  // 000000005184: BF8A0000
	v_mfma_f32_16x16x32_fp8_fp8 v[160:163], a[160:161], a[72:73], v[160:163]// 000000005188: D3F300A0 1E8291A0
	v_mfma_f32_16x16x32_fp8_fp8 v[160:163], a[162:163], a[74:75], v[160:163]// 000000005190: D3F300A0 1E8295A2
	buffer_load_dwordx4 a[144:147], v84, s[84:87], 0 offen     // 000000005198: E05C1000 80959054
	v_mfma_f32_16x16x32_fp8_fp8 v[160:163], a[164:165], a[76:77], v[160:163]// 0000000051A0: D3F300A0 1E8299A4
	v_mfma_f32_16x16x32_fp8_fp8 v[160:163], a[166:167], a[78:79], v[160:163]// 0000000051A8: D3F300A0 1E829DA6
	ds_read_b128 a[0:3], v2 offset:18560                       // 0000000051B0: DBFE4880 00000002
	ds_read_b128 a[4:7], v2 offset:18624                       // 0000000051B8: DBFE48C0 04000002
	v_mfma_f32_16x16x32_fp8_fp8 v[196:199], a[168:169], a[72:73], v[196:199]// 0000000051C0: D3F300C4 1F1291A8
	v_mfma_f32_16x16x32_fp8_fp8 v[196:199], a[170:171], a[74:75], v[196:199]// 0000000051C8: D3F300C4 1F1295AA
	buffer_load_dwordx4 a[148:151], v84, s[84:87], 0 offen offset:1024// 0000000051D0: E05C1400 80959454
	v_mfma_f32_16x16x32_fp8_fp8 v[196:199], a[172:173], a[76:77], v[196:199]// 0000000051D8: D3F300C4 1F1299AC
	v_mfma_f32_16x16x32_fp8_fp8 v[196:199], a[174:175], a[78:79], v[196:199]// 0000000051E0: D3F300C4 1F129DAE
	ds_read_b128 a[8:11], v2 offset:19072                      // 0000000051E8: DBFE4A80 08000002
	ds_read_b128 a[12:15], v2 offset:19136                     // 0000000051F0: DBFE4AC0 0C000002
	v_mfma_f32_16x16x32_fp8_fp8 v[164:167], a[160:161], a[80:81], v[164:167]// 0000000051F8: D3F300A4 1E92A1A0
	v_mfma_f32_16x16x32_fp8_fp8 v[164:167], a[162:163], a[82:83], v[164:167]// 000000005200: D3F300A4 1E92A5A2
	buffer_load_dwordx4 a[152:155], v85, s[84:87], 0 offen     // 000000005208: E05C1000 80959855
	v_mfma_f32_16x16x32_fp8_fp8 v[164:167], a[164:165], a[84:85], v[164:167]// 000000005210: D3F300A4 1E92A9A4
	v_mfma_f32_16x16x32_fp8_fp8 v[164:167], a[166:167], a[86:87], v[164:167]// 000000005218: D3F300A4 1E92ADA6
	ds_read_b128 a[16:19], v2 offset:19584                     // 000000005220: DBFE4C80 10000002
	ds_read_b128 a[20:23], v2 offset:19648                     // 000000005228: DBFE4CC0 14000002
	v_mfma_f32_16x16x32_fp8_fp8 v[200:203], a[168:169], a[80:81], v[200:203]// 000000005230: D3F300C8 1F22A1A8
	v_mfma_f32_16x16x32_fp8_fp8 v[200:203], a[170:171], a[82:83], v[200:203]// 000000005238: D3F300C8 1F22A5AA
	buffer_load_dwordx4 a[156:159], v85, s[84:87], 0 offen offset:1024// 000000005240: E05C1400 80959C55
	v_mfma_f32_16x16x32_fp8_fp8 v[200:203], a[172:173], a[84:85], v[200:203]// 000000005248: D3F300C8 1F22A9AC
	v_mfma_f32_16x16x32_fp8_fp8 v[200:203], a[174:175], a[86:87], v[200:203]// 000000005250: D3F300C8 1F22ADAE
	ds_read_b128 a[24:27], v2 offset:20096                     // 000000005258: DBFE4E80 18000002
	ds_read_b128 a[28:31], v2 offset:20160                     // 000000005260: DBFE4EC0 1C000002
	v_mfma_f32_16x16x32_fp8_fp8 v[168:171], a[160:161], a[88:89], v[168:171]// 000000005268: D3F300A8 1EA2B1A0
	v_mfma_f32_16x16x32_fp8_fp8 v[168:171], a[162:163], a[90:91], v[168:171]// 000000005270: D3F300A8 1EA2B5A2
	v_mfma_f32_16x16x32_fp8_fp8 v[168:171], a[164:165], a[92:93], v[168:171]// 000000005278: D3F300A8 1EA2B9A4
	v_mfma_f32_16x16x32_fp8_fp8 v[168:171], a[166:167], a[94:95], v[168:171]// 000000005280: D3F300A8 1EA2BDA6
	ds_read_b128 a[32:35], v2 offset:20608                     // 000000005288: DBFE5080 20000002
	ds_read_b128 a[36:39], v2 offset:20672                     // 000000005290: DBFE50C0 24000002
	v_mfma_f32_16x16x32_fp8_fp8 v[204:207], a[168:169], a[88:89], v[204:207]// 000000005298: D3F300CC 1F32B1A8
	v_mfma_f32_16x16x32_fp8_fp8 v[204:207], a[170:171], a[90:91], v[204:207]// 0000000052A0: D3F300CC 1F32B5AA
	v_mfma_f32_16x16x32_fp8_fp8 v[204:207], a[172:173], a[92:93], v[204:207]// 0000000052A8: D3F300CC 1F32B9AC
	v_mfma_f32_16x16x32_fp8_fp8 v[204:207], a[174:175], a[94:95], v[204:207]// 0000000052B0: D3F300CC 1F32BDAE
	ds_read_b128 a[40:43], v2 offset:21120                     // 0000000052B8: DBFE5280 28000002
	ds_read_b128 a[44:47], v2 offset:21184                     // 0000000052C0: DBFE52C0 2C000002
	v_mfma_f32_16x16x32_fp8_fp8 v[172:175], a[160:161], a[96:97], v[172:175]// 0000000052C8: D3F300AC 1EB2C1A0
	v_mfma_f32_16x16x32_fp8_fp8 v[172:175], a[162:163], a[98:99], v[172:175]// 0000000052D0: D3F300AC 1EB2C5A2
	v_mfma_f32_16x16x32_fp8_fp8 v[172:175], a[164:165], a[100:101], v[172:175]// 0000000052D8: D3F300AC 1EB2C9A4
	v_mfma_f32_16x16x32_fp8_fp8 v[172:175], a[166:167], a[102:103], v[172:175]// 0000000052E0: D3F300AC 1EB2CDA6
	ds_read_b128 a[48:51], v2 offset:21632                     // 0000000052E8: DBFE5480 30000002
	ds_read_b128 a[52:55], v2 offset:21696                     // 0000000052F0: DBFE54C0 34000002
	v_mfma_f32_16x16x32_fp8_fp8 v[208:211], a[168:169], a[96:97], v[208:211]// 0000000052F8: D3F300D0 1F42C1A8
	v_mfma_f32_16x16x32_fp8_fp8 v[208:211], a[170:171], a[98:99], v[208:211]// 000000005300: D3F300D0 1F42C5AA
	v_mfma_f32_16x16x32_fp8_fp8 v[208:211], a[172:173], a[100:101], v[208:211]// 000000005308: D3F300D0 1F42C9AC
	v_mfma_f32_16x16x32_fp8_fp8 v[208:211], a[174:175], a[102:103], v[208:211]// 000000005310: D3F300D0 1F42CDAE
	ds_read_b128 a[56:59], v2 offset:22144                     // 000000005318: DBFE5680 38000002
	ds_read_b128 a[60:63], v2 offset:22208                     // 000000005320: DBFE56C0 3C000002
	v_mfma_f32_16x16x32_fp8_fp8 v[176:179], a[160:161], a[104:105], v[176:179]// 000000005328: D3F300B0 1EC2D1A0
	v_mfma_f32_16x16x32_fp8_fp8 v[176:179], a[162:163], a[106:107], v[176:179]// 000000005330: D3F300B0 1EC2D5A2
	v_mfma_f32_16x16x32_fp8_fp8 v[176:179], a[164:165], a[108:109], v[176:179]// 000000005338: D3F300B0 1EC2D9A4
	v_mfma_f32_16x16x32_fp8_fp8 v[176:179], a[166:167], a[110:111], v[176:179]// 000000005340: D3F300B0 1EC2DDA6
	ds_read_b128 a[64:67], v2 offset:22656                     // 000000005348: DBFE5880 40000002
	ds_read_b128 a[68:71], v2 offset:22720                     // 000000005350: DBFE58C0 44000002
	v_mfma_f32_16x16x32_fp8_fp8 v[212:215], a[168:169], a[104:105], v[212:215]// 000000005358: D3F300D4 1F52D1A8
	v_mfma_f32_16x16x32_fp8_fp8 v[212:215], a[170:171], a[106:107], v[212:215]// 000000005360: D3F300D4 1F52D5AA
	v_mfma_f32_16x16x32_fp8_fp8 v[212:215], a[172:173], a[108:109], v[212:215]// 000000005368: D3F300D4 1F52D9AC
	v_mfma_f32_16x16x32_fp8_fp8 v[212:215], a[174:175], a[110:111], v[212:215]// 000000005370: D3F300D4 1F52DDAE
	v_mfma_f32_16x16x32_fp8_fp8 v[180:183], a[160:161], a[112:113], v[180:183]// 000000005378: D3F300B4 1ED2E1A0
	v_mfma_f32_16x16x32_fp8_fp8 v[180:183], a[162:163], a[114:115], v[180:183]// 000000005380: D3F300B4 1ED2E5A2
	v_mfma_f32_16x16x32_fp8_fp8 v[180:183], a[164:165], a[116:117], v[180:183]// 000000005388: D3F300B4 1ED2E9A4
	v_mfma_f32_16x16x32_fp8_fp8 v[180:183], a[166:167], a[118:119], v[180:183]// 000000005390: D3F300B4 1ED2EDA6
	v_mfma_f32_16x16x32_fp8_fp8 v[216:219], a[168:169], a[112:113], v[216:219]// 000000005398: D3F300D8 1F62E1A8
	v_mfma_f32_16x16x32_fp8_fp8 v[216:219], a[170:171], a[114:115], v[216:219]// 0000000053A0: D3F300D8 1F62E5AA
	v_mfma_f32_16x16x32_fp8_fp8 v[216:219], a[172:173], a[116:117], v[216:219]// 0000000053A8: D3F300D8 1F62E9AC
	v_mfma_f32_16x16x32_fp8_fp8 v[216:219], a[174:175], a[118:119], v[216:219]// 0000000053B0: D3F300D8 1F62EDAE
	v_mfma_f32_16x16x32_fp8_fp8 v[184:187], a[160:161], a[120:121], v[184:187]// 0000000053B8: D3F300B8 1EE2F1A0
	v_mfma_f32_16x16x32_fp8_fp8 v[184:187], a[162:163], a[122:123], v[184:187]// 0000000053C0: D3F300B8 1EE2F5A2
	v_mfma_f32_16x16x32_fp8_fp8 v[184:187], a[164:165], a[124:125], v[184:187]// 0000000053C8: D3F300B8 1EE2F9A4
	v_mfma_f32_16x16x32_fp8_fp8 v[184:187], a[166:167], a[126:127], v[184:187]// 0000000053D0: D3F300B8 1EE2FDA6
	v_mfma_f32_16x16x32_fp8_fp8 v[220:223], a[168:169], a[120:121], v[220:223]// 0000000053D8: D3F300DC 1F72F1A8
	v_mfma_f32_16x16x32_fp8_fp8 v[220:223], a[170:171], a[122:123], v[220:223]// 0000000053E0: D3F300DC 1F72F5AA
	v_mfma_f32_16x16x32_fp8_fp8 v[220:223], a[172:173], a[124:125], v[220:223]// 0000000053E8: D3F300DC 1F72F9AC
	v_mfma_f32_16x16x32_fp8_fp8 v[220:223], a[174:175], a[126:127], v[220:223]// 0000000053F0: D3F300DC 1F72FDAE
	v_mfma_f32_16x16x32_fp8_fp8 v[188:191], a[160:161], a[128:129], v[188:191]// 0000000053F8: D3F300BC 1EF301A0
	v_mfma_f32_16x16x32_fp8_fp8 v[188:191], a[162:163], a[130:131], v[188:191]// 000000005400: D3F300BC 1EF305A2
	v_mfma_f32_16x16x32_fp8_fp8 v[188:191], a[164:165], a[132:133], v[188:191]// 000000005408: D3F300BC 1EF309A4
	v_mfma_f32_16x16x32_fp8_fp8 v[188:191], a[166:167], a[134:135], v[188:191]// 000000005410: D3F300BC 1EF30DA6
	v_mfma_f32_16x16x32_fp8_fp8 v[224:227], a[168:169], a[128:129], v[224:227]// 000000005418: D3F300E0 1F8301A8
	v_mfma_f32_16x16x32_fp8_fp8 v[224:227], a[170:171], a[130:131], v[224:227]// 000000005420: D3F300E0 1F8305AA
	v_mfma_f32_16x16x32_fp8_fp8 v[224:227], a[172:173], a[132:133], v[224:227]// 000000005428: D3F300E0 1F8309AC
	v_mfma_f32_16x16x32_fp8_fp8 v[224:227], a[174:175], a[134:135], v[224:227]// 000000005430: D3F300E0 1F830DAE
	v_mfma_f32_16x16x32_fp8_fp8 v[192:195], a[160:161], a[136:137], v[192:195]// 000000005438: D3F300C0 1F0311A0
	s_add_u32 s60, 0x180, s80                                  // 000000005440: 803C50FF 00000180
	s_cmp_lt_u32 s60, s81                                      // 000000005448: BF0A513C
	s_cselect_b32 s57, s57, 0                                  // 00000000544C: 85398039
	v_mfma_f32_16x16x32_fp8_fp8 v[192:195], a[162:163], a[138:139], v[192:195]// 000000005450: D3F300C0 1F0315A2
	s_add_u32 s60, 0x100, s80                                  // 000000005458: 803C50FF 00000100
	s_cmp_lt_u32 s60, s81                                      // 000000005460: BF0A513C
	s_cselect_b32 s58, s58, 0                                  // 000000005464: 853A803A
	v_mfma_f32_16x16x32_fp8_fp8 v[192:195], a[164:165], a[140:141], v[192:195]// 000000005468: D3F300C0 1F0319A4
	s_add_u32 s60, 0x100, s80                                  // 000000005470: 803C50FF 00000100
	s_cmp_lt_u32 s60, s81                                      // 000000005478: BF0A513C
	s_cselect_b32 s83, s83, 0                                  // 00000000547C: 85538053
	v_mfma_f32_16x16x32_fp8_fp8 v[192:195], a[166:167], a[142:143], v[192:195]// 000000005480: D3F300C0 1F031DA6
	s_add_u32 s24, s58, s24                                    // 000000005488: 8018183A
	s_addc_u32 s25, 0, s25                                     // 00000000548C: 82191980
	v_mfma_f32_16x16x32_fp8_fp8 v[228:231], a[168:169], a[136:137], v[228:231]// 000000005490: D3F300E4 1F9311A8
	s_add_u32 s20, s57, s20                                    // 000000005498: 80141439
	s_addc_u32 s21, 0, s21                                     // 00000000549C: 82151580
	v_mfma_f32_16x16x32_fp8_fp8 v[228:231], a[170:171], a[138:139], v[228:231]// 0000000054A0: D3F300E4 1F9315AA
	s_add_u32 s84, s83, s84                                    // 0000000054A8: 80545453
	s_addc_u32 s85, 0, s85                                     // 0000000054AC: 82555580
	v_mfma_f32_16x16x32_fp8_fp8 v[228:231], a[172:173], a[140:141], v[228:231]// 0000000054B0: D3F300E4 1F9319AC
	v_mfma_f32_16x16x32_fp8_fp8 v[228:231], a[174:175], a[142:143], v[228:231]// 0000000054B8: D3F300E4 1F931DAE
	s_addk_i32 s80, 0x80                                       // 0000000054C0: B7500080
	s_cmp_lt_i32 s80, s81                                      // 0000000054C4: BF045150
	s_cbranch_scc0 label_0E1A                                  // 0000000054C8: BF840367
	s_waitcnt vmcnt(22) lgkmcnt(0)                             // 0000000054CC: BF8C4076
	v_mfma_f32_16x16x32_fp8_fp8 v[88:91], a[176:177], a[0:1], v[88:91]// 0000000054D0: D3F30058 1D6201B0
	v_mfma_f32_16x16x32_fp8_fp8 v[88:91], a[178:179], a[2:3], v[88:91]// 0000000054D8: D3F30058 1D6205B2
	buffer_load_dwordx4 a[160:163], v84, s[24:27], 0 offen     // 0000000054E0: E05C1000 8086A054
	v_mfma_f32_16x16x32_fp8_fp8 v[88:91], a[180:181], a[4:5], v[88:91]// 0000000054E8: D3F30058 1D6209B4
	v_mfma_f32_16x16x32_fp8_fp8 v[88:91], a[182:183], a[6:7], v[88:91]// 0000000054F0: D3F30058 1D620DB6
	v_mfma_f32_16x16x32_fp8_fp8 v[124:127], a[184:185], a[0:1], v[124:127]// 0000000054F8: D3F3007C 1DF201B8
	v_mfma_f32_16x16x32_fp8_fp8 v[124:127], a[186:187], a[2:3], v[124:127]// 000000005500: D3F3007C 1DF205BA
	buffer_load_dwordx4 a[164:167], v84, s[24:27], 0 offen offset:1024// 000000005508: E05C1400 8086A454
	v_mfma_f32_16x16x32_fp8_fp8 v[124:127], a[188:189], a[4:5], v[124:127]// 000000005510: D3F3007C 1DF209BC
	v_mfma_f32_16x16x32_fp8_fp8 v[124:127], a[190:191], a[6:7], v[124:127]// 000000005518: D3F3007C 1DF20DBE
	v_mfma_f32_16x16x32_fp8_fp8 v[92:95], a[176:177], a[8:9], v[92:95]// 000000005520: D3F3005C 1D7211B0
	v_mfma_f32_16x16x32_fp8_fp8 v[92:95], a[178:179], a[10:11], v[92:95]// 000000005528: D3F3005C 1D7215B2
	buffer_load_dwordx4 a[168:171], v85, s[24:27], 0 offen     // 000000005530: E05C1000 8086A855
	v_mfma_f32_16x16x32_fp8_fp8 v[92:95], a[180:181], a[12:13], v[92:95]// 000000005538: D3F3005C 1D7219B4
	v_mfma_f32_16x16x32_fp8_fp8 v[92:95], a[182:183], a[14:15], v[92:95]// 000000005540: D3F3005C 1D721DB6
	v_mfma_f32_16x16x32_fp8_fp8 v[128:131], a[184:185], a[8:9], v[128:131]// 000000005548: D3F30080 1E0211B8
	v_mfma_f32_16x16x32_fp8_fp8 v[128:131], a[186:187], a[10:11], v[128:131]// 000000005550: D3F30080 1E0215BA
	buffer_load_dwordx4 a[172:175], v85, s[24:27], 0 offen offset:1024// 000000005558: E05C1400 8086AC55
	buffer_load_dword v66, s[20:23], 0 offen lds               // 000000005560: E0511000 80050042
	s_add_u32 m0, 0x100, s48                                   // 000000005568: 807C30FF 00000100
	v_mfma_f32_16x16x32_fp8_fp8 v[128:131], a[188:189], a[12:13], v[128:131]// 000000005570: D3F30080 1E0219BC
	v_mfma_f32_16x16x32_fp8_fp8 v[128:131], a[190:191], a[14:15], v[128:131]// 000000005578: D3F30080 1E021DBE
	buffer_load_dword v67, s[20:23], 0 offen lds               // 000000005580: E0511000 80050043
	s_add_u32 m0, 0x200, s48                                   // 000000005588: 807C30FF 00000200
	v_mfma_f32_16x16x32_fp8_fp8 v[96:99], a[176:177], a[16:17], v[96:99]// 000000005590: D3F30060 1D8221B0
	v_mfma_f32_16x16x32_fp8_fp8 v[96:99], a[178:179], a[18:19], v[96:99]// 000000005598: D3F30060 1D8225B2
	buffer_load_dword v68, s[20:23], 0 offen lds               // 0000000055A0: E0511000 80050044
	s_add_u32 m0, 0x300, s48                                   // 0000000055A8: 807C30FF 00000300
	v_mfma_f32_16x16x32_fp8_fp8 v[96:99], a[180:181], a[20:21], v[96:99]// 0000000055B0: D3F30060 1D8229B4
	v_mfma_f32_16x16x32_fp8_fp8 v[96:99], a[182:183], a[22:23], v[96:99]// 0000000055B8: D3F30060 1D822DB6
	buffer_load_dword v69, s[20:23], 0 offen lds               // 0000000055C0: E0511000 80050045
	s_add_u32 m0, 0x400, s48                                   // 0000000055C8: 807C30FF 00000400
	v_mfma_f32_16x16x32_fp8_fp8 v[132:135], a[184:185], a[16:17], v[132:135]// 0000000055D0: D3F30084 1E1221B8
	v_mfma_f32_16x16x32_fp8_fp8 v[132:135], a[186:187], a[18:19], v[132:135]// 0000000055D8: D3F30084 1E1225BA
	buffer_load_dword v70, s[20:23], 0 offen lds               // 0000000055E0: E0511000 80050046
	s_add_u32 m0, 0x500, s48                                   // 0000000055E8: 807C30FF 00000500
	v_mfma_f32_16x16x32_fp8_fp8 v[132:135], a[188:189], a[20:21], v[132:135]// 0000000055F0: D3F30084 1E1229BC
	v_mfma_f32_16x16x32_fp8_fp8 v[132:135], a[190:191], a[22:23], v[132:135]// 0000000055F8: D3F30084 1E122DBE
	buffer_load_dword v71, s[20:23], 0 offen lds               // 000000005600: E0511000 80050047
	s_add_u32 m0, 0x600, s48                                   // 000000005608: 807C30FF 00000600
	v_mfma_f32_16x16x32_fp8_fp8 v[100:103], a[176:177], a[24:25], v[100:103]// 000000005610: D3F30064 1D9231B0
	v_mfma_f32_16x16x32_fp8_fp8 v[100:103], a[178:179], a[26:27], v[100:103]// 000000005618: D3F30064 1D9235B2
	buffer_load_dword v72, s[20:23], 0 offen lds               // 000000005620: E0511000 80050048
	s_add_u32 m0, 0x700, s48                                   // 000000005628: 807C30FF 00000700
	v_mfma_f32_16x16x32_fp8_fp8 v[100:103], a[180:181], a[28:29], v[100:103]// 000000005630: D3F30064 1D9239B4
	v_mfma_f32_16x16x32_fp8_fp8 v[100:103], a[182:183], a[30:31], v[100:103]// 000000005638: D3F30064 1D923DB6
	buffer_load_dword v73, s[20:23], 0 offen lds               // 000000005640: E0511000 80050049
	s_add_u32 m0, 0x800, s48                                   // 000000005648: 807C30FF 00000800
	v_mfma_f32_16x16x32_fp8_fp8 v[136:139], a[184:185], a[24:25], v[136:139]// 000000005650: D3F30088 1E2231B8
	v_mfma_f32_16x16x32_fp8_fp8 v[136:139], a[186:187], a[26:27], v[136:139]// 000000005658: D3F30088 1E2235BA
	buffer_load_dword v74, s[20:23], 0 offen lds               // 000000005660: E0511000 8005004A
	s_add_u32 m0, 0x900, s48                                   // 000000005668: 807C30FF 00000900
	v_mfma_f32_16x16x32_fp8_fp8 v[136:139], a[188:189], a[28:29], v[136:139]// 000000005670: D3F30088 1E2239BC
	v_mfma_f32_16x16x32_fp8_fp8 v[136:139], a[190:191], a[30:31], v[136:139]// 000000005678: D3F30088 1E223DBE
	buffer_load_dword v75, s[20:23], 0 offen lds               // 000000005680: E0511000 8005004B
	s_add_u32 m0, 0xa00, s48                                   // 000000005688: 807C30FF 00000A00
	v_mfma_f32_16x16x32_fp8_fp8 v[104:107], a[176:177], a[32:33], v[104:107]// 000000005690: D3F30068 1DA241B0
	v_mfma_f32_16x16x32_fp8_fp8 v[104:107], a[178:179], a[34:35], v[104:107]// 000000005698: D3F30068 1DA245B2
	buffer_load_dword v76, s[20:23], 0 offen lds               // 0000000056A0: E0511000 8005004C
	s_add_u32 m0, 0xb00, s48                                   // 0000000056A8: 807C30FF 00000B00
	v_mfma_f32_16x16x32_fp8_fp8 v[104:107], a[180:181], a[36:37], v[104:107]// 0000000056B0: D3F30068 1DA249B4
	v_mfma_f32_16x16x32_fp8_fp8 v[104:107], a[182:183], a[38:39], v[104:107]// 0000000056B8: D3F30068 1DA24DB6
	buffer_load_dword v77, s[20:23], 0 offen lds               // 0000000056C0: E0511000 8005004D
	s_add_u32 m0, 0xc00, s48                                   // 0000000056C8: 807C30FF 00000C00
	v_mfma_f32_16x16x32_fp8_fp8 v[140:143], a[184:185], a[32:33], v[140:143]// 0000000056D0: D3F3008C 1E3241B8
	v_mfma_f32_16x16x32_fp8_fp8 v[140:143], a[186:187], a[34:35], v[140:143]// 0000000056D8: D3F3008C 1E3245BA
	buffer_load_dword v78, s[20:23], 0 offen lds               // 0000000056E0: E0511000 8005004E
	s_add_u32 m0, 0xd00, s48                                   // 0000000056E8: 807C30FF 00000D00
	v_mfma_f32_16x16x32_fp8_fp8 v[140:143], a[188:189], a[36:37], v[140:143]// 0000000056F0: D3F3008C 1E3249BC
	v_mfma_f32_16x16x32_fp8_fp8 v[140:143], a[190:191], a[38:39], v[140:143]// 0000000056F8: D3F3008C 1E324DBE
	buffer_load_dword v79, s[20:23], 0 offen lds               // 000000005700: E0511000 8005004F
	s_add_u32 m0, 0xe00, s48                                   // 000000005708: 807C30FF 00000E00
	v_mfma_f32_16x16x32_fp8_fp8 v[108:111], a[176:177], a[40:41], v[108:111]// 000000005710: D3F3006C 1DB251B0
	v_mfma_f32_16x16x32_fp8_fp8 v[108:111], a[178:179], a[42:43], v[108:111]// 000000005718: D3F3006C 1DB255B2
	buffer_load_dword v80, s[20:23], 0 offen lds               // 000000005720: E0511000 80050050
	s_add_u32 m0, 0xf00, s48                                   // 000000005728: 807C30FF 00000F00
	v_mfma_f32_16x16x32_fp8_fp8 v[108:111], a[180:181], a[44:45], v[108:111]// 000000005730: D3F3006C 1DB259B4
	v_mfma_f32_16x16x32_fp8_fp8 v[108:111], a[182:183], a[46:47], v[108:111]// 000000005738: D3F3006C 1DB25DB6
	buffer_load_dword v81, s[20:23], 0 offen lds               // 000000005740: E0511000 80050051
	s_add_u32 m0, 0x1000, s48                                  // 000000005748: 807C30FF 00001000
	v_mfma_f32_16x16x32_fp8_fp8 v[144:147], a[184:185], a[40:41], v[144:147]// 000000005750: D3F30090 1E4251B8
	v_mfma_f32_16x16x32_fp8_fp8 v[144:147], a[186:187], a[42:43], v[144:147]// 000000005758: D3F30090 1E4255BA
	buffer_load_dword v82, s[20:23], 0 offen lds               // 000000005760: E0511000 80050052
	s_add_u32 m0, 0x1100, s48                                  // 000000005768: 807C30FF 00001100
	v_mfma_f32_16x16x32_fp8_fp8 v[144:147], a[188:189], a[44:45], v[144:147]// 000000005770: D3F30090 1E4259BC
	v_mfma_f32_16x16x32_fp8_fp8 v[144:147], a[190:191], a[46:47], v[144:147]// 000000005778: D3F30090 1E425DBE
	buffer_load_dword v83, s[20:23], 0 offen lds               // 000000005780: E0511000 80050053
	s_add_u32 m0, 0, s49                                       // 000000005788: 807C3180
	v_mfma_f32_16x16x32_fp8_fp8 v[112:115], a[176:177], a[48:49], v[112:115]// 00000000578C: D3F30070 1DC261B0
	v_mfma_f32_16x16x32_fp8_fp8 v[112:115], a[178:179], a[50:51], v[112:115]// 000000005794: D3F30070 1DC265B2
	v_mfma_f32_16x16x32_fp8_fp8 v[112:115], a[180:181], a[52:53], v[112:115]// 00000000579C: D3F30070 1DC269B4
	v_mfma_f32_16x16x32_fp8_fp8 v[112:115], a[182:183], a[54:55], v[112:115]// 0000000057A4: D3F30070 1DC26DB6
	v_mfma_f32_16x16x32_fp8_fp8 v[148:151], a[184:185], a[48:49], v[148:151]// 0000000057AC: D3F30094 1E5261B8
	v_mfma_f32_16x16x32_fp8_fp8 v[148:151], a[186:187], a[50:51], v[148:151]// 0000000057B4: D3F30094 1E5265BA
	v_mfma_f32_16x16x32_fp8_fp8 v[148:151], a[188:189], a[52:53], v[148:151]// 0000000057BC: D3F30094 1E5269BC
	v_mfma_f32_16x16x32_fp8_fp8 v[148:151], a[190:191], a[54:55], v[148:151]// 0000000057C4: D3F30094 1E526DBE
	v_mfma_f32_16x16x32_fp8_fp8 v[116:119], a[176:177], a[56:57], v[116:119]// 0000000057CC: D3F30074 1DD271B0
	v_mfma_f32_16x16x32_fp8_fp8 v[116:119], a[178:179], a[58:59], v[116:119]// 0000000057D4: D3F30074 1DD275B2
	v_mfma_f32_16x16x32_fp8_fp8 v[116:119], a[180:181], a[60:61], v[116:119]// 0000000057DC: D3F30074 1DD279B4
	v_mfma_f32_16x16x32_fp8_fp8 v[116:119], a[182:183], a[62:63], v[116:119]// 0000000057E4: D3F30074 1DD27DB6
	v_mfma_f32_16x16x32_fp8_fp8 v[152:155], a[184:185], a[56:57], v[152:155]// 0000000057EC: D3F30098 1E6271B8
	v_mfma_f32_16x16x32_fp8_fp8 v[152:155], a[186:187], a[58:59], v[152:155]// 0000000057F4: D3F30098 1E6275BA
	v_mfma_f32_16x16x32_fp8_fp8 v[152:155], a[188:189], a[60:61], v[152:155]// 0000000057FC: D3F30098 1E6279BC
	v_mfma_f32_16x16x32_fp8_fp8 v[152:155], a[190:191], a[62:63], v[152:155]// 000000005804: D3F30098 1E627DBE
	v_mfma_f32_16x16x32_fp8_fp8 v[120:123], a[176:177], a[64:65], v[120:123]// 00000000580C: D3F30078 1DE281B0
	v_mfma_f32_16x16x32_fp8_fp8 v[120:123], a[178:179], a[66:67], v[120:123]// 000000005814: D3F30078 1DE285B2
	v_mfma_f32_16x16x32_fp8_fp8 v[120:123], a[180:181], a[68:69], v[120:123]// 00000000581C: D3F30078 1DE289B4
	v_mfma_f32_16x16x32_fp8_fp8 v[120:123], a[182:183], a[70:71], v[120:123]// 000000005824: D3F30078 1DE28DB6
	v_mfma_f32_16x16x32_fp8_fp8 v[156:159], a[184:185], a[64:65], v[156:159]// 00000000582C: D3F3009C 1E7281B8
	v_mfma_f32_16x16x32_fp8_fp8 v[156:159], a[186:187], a[66:67], v[156:159]// 000000005834: D3F3009C 1E7285BA
	v_mfma_f32_16x16x32_fp8_fp8 v[156:159], a[188:189], a[68:69], v[156:159]// 00000000583C: D3F3009C 1E7289BC
	v_mfma_f32_16x16x32_fp8_fp8 v[156:159], a[190:191], a[70:71], v[156:159]// 000000005844: D3F3009C 1E728DBE
	s_waitcnt vmcnt(22)                                        // 00000000584C: BF8C4F76
	s_barrier                                                  // 000000005850: BF8A0000
	v_mfma_f32_16x16x32_fp8_fp8 v[160:163], a[144:145], a[0:1], v[160:163]// 000000005854: D3F300A0 1E820190
	v_mfma_f32_16x16x32_fp8_fp8 v[160:163], a[146:147], a[2:3], v[160:163]// 00000000585C: D3F300A0 1E820592
	buffer_load_dwordx4 a[176:179], v84, s[84:87], 0 offen     // 000000005864: E05C1000 8095B054
	v_mfma_f32_16x16x32_fp8_fp8 v[160:163], a[148:149], a[4:5], v[160:163]// 00000000586C: D3F300A0 1E820994
	v_mfma_f32_16x16x32_fp8_fp8 v[160:163], a[150:151], a[6:7], v[160:163]// 000000005874: D3F300A0 1E820D96
	ds_read_b128 a[72:75], v2 offset:37120                     // 00000000587C: DBFE9100 48000002
	ds_read_b128 a[76:79], v2 offset:37184                     // 000000005884: DBFE9140 4C000002
	v_mfma_f32_16x16x32_fp8_fp8 v[196:199], a[152:153], a[0:1], v[196:199]// 00000000588C: D3F300C4 1F120198
	v_mfma_f32_16x16x32_fp8_fp8 v[196:199], a[154:155], a[2:3], v[196:199]// 000000005894: D3F300C4 1F12059A
	buffer_load_dwordx4 a[180:183], v84, s[84:87], 0 offen offset:1024// 00000000589C: E05C1400 8095B454
	v_mfma_f32_16x16x32_fp8_fp8 v[196:199], a[156:157], a[4:5], v[196:199]// 0000000058A4: D3F300C4 1F12099C
	v_mfma_f32_16x16x32_fp8_fp8 v[196:199], a[158:159], a[6:7], v[196:199]// 0000000058AC: D3F300C4 1F120D9E
	ds_read_b128 a[80:83], v2 offset:37632                     // 0000000058B4: DBFE9300 50000002
	ds_read_b128 a[84:87], v2 offset:37696                     // 0000000058BC: DBFE9340 54000002
	v_mfma_f32_16x16x32_fp8_fp8 v[164:167], a[144:145], a[8:9], v[164:167]// 0000000058C4: D3F300A4 1E921190
	v_mfma_f32_16x16x32_fp8_fp8 v[164:167], a[146:147], a[10:11], v[164:167]// 0000000058CC: D3F300A4 1E921592
	buffer_load_dwordx4 a[184:187], v85, s[84:87], 0 offen     // 0000000058D4: E05C1000 8095B855
	v_mfma_f32_16x16x32_fp8_fp8 v[164:167], a[148:149], a[12:13], v[164:167]// 0000000058DC: D3F300A4 1E921994
	v_mfma_f32_16x16x32_fp8_fp8 v[164:167], a[150:151], a[14:15], v[164:167]// 0000000058E4: D3F300A4 1E921D96
	ds_read_b128 a[88:91], v2 offset:38144                     // 0000000058EC: DBFE9500 58000002
	ds_read_b128 a[92:95], v2 offset:38208                     // 0000000058F4: DBFE9540 5C000002
	v_mfma_f32_16x16x32_fp8_fp8 v[200:203], a[152:153], a[8:9], v[200:203]// 0000000058FC: D3F300C8 1F221198
	v_mfma_f32_16x16x32_fp8_fp8 v[200:203], a[154:155], a[10:11], v[200:203]// 000000005904: D3F300C8 1F22159A
	buffer_load_dwordx4 a[188:191], v85, s[84:87], 0 offen offset:1024// 00000000590C: E05C1400 8095BC55
	v_mfma_f32_16x16x32_fp8_fp8 v[200:203], a[156:157], a[12:13], v[200:203]// 000000005914: D3F300C8 1F22199C
	v_mfma_f32_16x16x32_fp8_fp8 v[200:203], a[158:159], a[14:15], v[200:203]// 00000000591C: D3F300C8 1F221D9E
	ds_read_b128 a[96:99], v2 offset:38656                     // 000000005924: DBFE9700 60000002
	ds_read_b128 a[100:103], v2 offset:38720                   // 00000000592C: DBFE9740 64000002
	v_mfma_f32_16x16x32_fp8_fp8 v[168:171], a[144:145], a[16:17], v[168:171]// 000000005934: D3F300A8 1EA22190
	v_mfma_f32_16x16x32_fp8_fp8 v[168:171], a[146:147], a[18:19], v[168:171]// 00000000593C: D3F300A8 1EA22592
	v_mfma_f32_16x16x32_fp8_fp8 v[168:171], a[148:149], a[20:21], v[168:171]// 000000005944: D3F300A8 1EA22994
	v_mfma_f32_16x16x32_fp8_fp8 v[168:171], a[150:151], a[22:23], v[168:171]// 00000000594C: D3F300A8 1EA22D96
	ds_read_b128 a[104:107], v2 offset:39168                   // 000000005954: DBFE9900 68000002
	ds_read_b128 a[108:111], v2 offset:39232                   // 00000000595C: DBFE9940 6C000002
	v_mfma_f32_16x16x32_fp8_fp8 v[204:207], a[152:153], a[16:17], v[204:207]// 000000005964: D3F300CC 1F322198
	v_mfma_f32_16x16x32_fp8_fp8 v[204:207], a[154:155], a[18:19], v[204:207]// 00000000596C: D3F300CC 1F32259A
	v_mfma_f32_16x16x32_fp8_fp8 v[204:207], a[156:157], a[20:21], v[204:207]// 000000005974: D3F300CC 1F32299C
	v_mfma_f32_16x16x32_fp8_fp8 v[204:207], a[158:159], a[22:23], v[204:207]// 00000000597C: D3F300CC 1F322D9E
	ds_read_b128 a[112:115], v2 offset:39680                   // 000000005984: DBFE9B00 70000002
	ds_read_b128 a[116:119], v2 offset:39744                   // 00000000598C: DBFE9B40 74000002
	v_mfma_f32_16x16x32_fp8_fp8 v[172:175], a[144:145], a[24:25], v[172:175]// 000000005994: D3F300AC 1EB23190
	v_mfma_f32_16x16x32_fp8_fp8 v[172:175], a[146:147], a[26:27], v[172:175]// 00000000599C: D3F300AC 1EB23592
	v_mfma_f32_16x16x32_fp8_fp8 v[172:175], a[148:149], a[28:29], v[172:175]// 0000000059A4: D3F300AC 1EB23994
	v_mfma_f32_16x16x32_fp8_fp8 v[172:175], a[150:151], a[30:31], v[172:175]// 0000000059AC: D3F300AC 1EB23D96
	ds_read_b128 a[120:123], v2 offset:40192                   // 0000000059B4: DBFE9D00 78000002
	ds_read_b128 a[124:127], v2 offset:40256                   // 0000000059BC: DBFE9D40 7C000002
	v_mfma_f32_16x16x32_fp8_fp8 v[208:211], a[152:153], a[24:25], v[208:211]// 0000000059C4: D3F300D0 1F423198
	v_mfma_f32_16x16x32_fp8_fp8 v[208:211], a[154:155], a[26:27], v[208:211]// 0000000059CC: D3F300D0 1F42359A
	v_mfma_f32_16x16x32_fp8_fp8 v[208:211], a[156:157], a[28:29], v[208:211]// 0000000059D4: D3F300D0 1F42399C
	v_mfma_f32_16x16x32_fp8_fp8 v[208:211], a[158:159], a[30:31], v[208:211]// 0000000059DC: D3F300D0 1F423D9E
	ds_read_b128 a[128:131], v2 offset:40704                   // 0000000059E4: DBFE9F00 80000002
	ds_read_b128 a[132:135], v2 offset:40768                   // 0000000059EC: DBFE9F40 84000002
	v_mfma_f32_16x16x32_fp8_fp8 v[176:179], a[144:145], a[32:33], v[176:179]// 0000000059F4: D3F300B0 1EC24190
	v_mfma_f32_16x16x32_fp8_fp8 v[176:179], a[146:147], a[34:35], v[176:179]// 0000000059FC: D3F300B0 1EC24592
	v_mfma_f32_16x16x32_fp8_fp8 v[176:179], a[148:149], a[36:37], v[176:179]// 000000005A04: D3F300B0 1EC24994
	v_mfma_f32_16x16x32_fp8_fp8 v[176:179], a[150:151], a[38:39], v[176:179]// 000000005A0C: D3F300B0 1EC24D96
	ds_read_b128 a[136:139], v2 offset:41216                   // 000000005A14: DBFEA100 88000002
	ds_read_b128 a[140:143], v2 offset:41280                   // 000000005A1C: DBFEA140 8C000002
	v_mfma_f32_16x16x32_fp8_fp8 v[212:215], a[152:153], a[32:33], v[212:215]// 000000005A24: D3F300D4 1F524198
	v_mfma_f32_16x16x32_fp8_fp8 v[212:215], a[154:155], a[34:35], v[212:215]// 000000005A2C: D3F300D4 1F52459A
	v_mfma_f32_16x16x32_fp8_fp8 v[212:215], a[156:157], a[36:37], v[212:215]// 000000005A34: D3F300D4 1F52499C
	v_mfma_f32_16x16x32_fp8_fp8 v[212:215], a[158:159], a[38:39], v[212:215]// 000000005A3C: D3F300D4 1F524D9E
	v_mfma_f32_16x16x32_fp8_fp8 v[180:183], a[144:145], a[40:41], v[180:183]// 000000005A44: D3F300B4 1ED25190
	v_mfma_f32_16x16x32_fp8_fp8 v[180:183], a[146:147], a[42:43], v[180:183]// 000000005A4C: D3F300B4 1ED25592
	v_mfma_f32_16x16x32_fp8_fp8 v[180:183], a[148:149], a[44:45], v[180:183]// 000000005A54: D3F300B4 1ED25994
	v_mfma_f32_16x16x32_fp8_fp8 v[180:183], a[150:151], a[46:47], v[180:183]// 000000005A5C: D3F300B4 1ED25D96
	v_mfma_f32_16x16x32_fp8_fp8 v[216:219], a[152:153], a[40:41], v[216:219]// 000000005A64: D3F300D8 1F625198
	v_mfma_f32_16x16x32_fp8_fp8 v[216:219], a[154:155], a[42:43], v[216:219]// 000000005A6C: D3F300D8 1F62559A
	v_mfma_f32_16x16x32_fp8_fp8 v[216:219], a[156:157], a[44:45], v[216:219]// 000000005A74: D3F300D8 1F62599C
	v_mfma_f32_16x16x32_fp8_fp8 v[216:219], a[158:159], a[46:47], v[216:219]// 000000005A7C: D3F300D8 1F625D9E
	v_mfma_f32_16x16x32_fp8_fp8 v[184:187], a[144:145], a[48:49], v[184:187]// 000000005A84: D3F300B8 1EE26190
	v_mfma_f32_16x16x32_fp8_fp8 v[184:187], a[146:147], a[50:51], v[184:187]// 000000005A8C: D3F300B8 1EE26592
	v_mfma_f32_16x16x32_fp8_fp8 v[184:187], a[148:149], a[52:53], v[184:187]// 000000005A94: D3F300B8 1EE26994
	v_mfma_f32_16x16x32_fp8_fp8 v[184:187], a[150:151], a[54:55], v[184:187]// 000000005A9C: D3F300B8 1EE26D96
	v_mfma_f32_16x16x32_fp8_fp8 v[220:223], a[152:153], a[48:49], v[220:223]// 000000005AA4: D3F300DC 1F726198
	v_mfma_f32_16x16x32_fp8_fp8 v[220:223], a[154:155], a[50:51], v[220:223]// 000000005AAC: D3F300DC 1F72659A
	v_mfma_f32_16x16x32_fp8_fp8 v[220:223], a[156:157], a[52:53], v[220:223]// 000000005AB4: D3F300DC 1F72699C
	v_mfma_f32_16x16x32_fp8_fp8 v[220:223], a[158:159], a[54:55], v[220:223]// 000000005ABC: D3F300DC 1F726D9E
	v_mfma_f32_16x16x32_fp8_fp8 v[188:191], a[144:145], a[56:57], v[188:191]// 000000005AC4: D3F300BC 1EF27190
	v_mfma_f32_16x16x32_fp8_fp8 v[188:191], a[146:147], a[58:59], v[188:191]// 000000005ACC: D3F300BC 1EF27592
	v_mfma_f32_16x16x32_fp8_fp8 v[188:191], a[148:149], a[60:61], v[188:191]// 000000005AD4: D3F300BC 1EF27994
	v_mfma_f32_16x16x32_fp8_fp8 v[188:191], a[150:151], a[62:63], v[188:191]// 000000005ADC: D3F300BC 1EF27D96
	v_mfma_f32_16x16x32_fp8_fp8 v[224:227], a[152:153], a[56:57], v[224:227]// 000000005AE4: D3F300E0 1F827198
	v_mfma_f32_16x16x32_fp8_fp8 v[224:227], a[154:155], a[58:59], v[224:227]// 000000005AEC: D3F300E0 1F82759A
	v_mfma_f32_16x16x32_fp8_fp8 v[224:227], a[156:157], a[60:61], v[224:227]// 000000005AF4: D3F300E0 1F82799C
	v_mfma_f32_16x16x32_fp8_fp8 v[224:227], a[158:159], a[62:63], v[224:227]// 000000005AFC: D3F300E0 1F827D9E
	v_mfma_f32_16x16x32_fp8_fp8 v[192:195], a[144:145], a[64:65], v[192:195]// 000000005B04: D3F300C0 1F028190
	s_add_u32 s60, 0x180, s80                                  // 000000005B0C: 803C50FF 00000180
	s_cmp_lt_u32 s60, s81                                      // 000000005B14: BF0A513C
	s_cselect_b32 s57, s57, 0                                  // 000000005B18: 85398039
	v_mfma_f32_16x16x32_fp8_fp8 v[192:195], a[146:147], a[66:67], v[192:195]// 000000005B1C: D3F300C0 1F028592
	s_add_u32 s60, 0x100, s80                                  // 000000005B24: 803C50FF 00000100
	s_cmp_lt_u32 s60, s81                                      // 000000005B2C: BF0A513C
	s_cselect_b32 s58, s58, 0                                  // 000000005B30: 853A803A
	v_mfma_f32_16x16x32_fp8_fp8 v[192:195], a[148:149], a[68:69], v[192:195]// 000000005B34: D3F300C0 1F028994
	s_add_u32 s60, 0x100, s80                                  // 000000005B3C: 803C50FF 00000100
	s_cmp_lt_u32 s60, s81                                      // 000000005B44: BF0A513C
	s_cselect_b32 s83, s83, 0                                  // 000000005B48: 85538053
	v_mfma_f32_16x16x32_fp8_fp8 v[192:195], a[150:151], a[70:71], v[192:195]// 000000005B4C: D3F300C0 1F028D96
	s_add_u32 s24, s58, s24                                    // 000000005B54: 8018183A
	s_addc_u32 s25, 0, s25                                     // 000000005B58: 82191980
	v_mfma_f32_16x16x32_fp8_fp8 v[228:231], a[152:153], a[64:65], v[228:231]// 000000005B5C: D3F300E4 1F928198
	s_add_u32 s20, s57, s20                                    // 000000005B64: 80141439
	s_addc_u32 s21, 0, s21                                     // 000000005B68: 82151580
	v_mfma_f32_16x16x32_fp8_fp8 v[228:231], a[154:155], a[66:67], v[228:231]// 000000005B6C: D3F300E4 1F92859A
	s_add_u32 s84, s83, s84                                    // 000000005B74: 80545453
	s_addc_u32 s85, 0, s85                                     // 000000005B78: 82555580
	v_mfma_f32_16x16x32_fp8_fp8 v[228:231], a[156:157], a[68:69], v[228:231]// 000000005B7C: D3F300E4 1F92899C
	v_mfma_f32_16x16x32_fp8_fp8 v[228:231], a[158:159], a[70:71], v[228:231]// 000000005B84: D3F300E4 1F928D9E
	s_addk_i32 s80, 0x80                                       // 000000005B8C: B7500080
	s_cmp_lt_i32 s80, s81                                      // 000000005B90: BF045150
	s_cbranch_scc0 label_0E1A                                  // 000000005B94: BF8401B4
	s_waitcnt vmcnt(22) lgkmcnt(0)                             // 000000005B98: BF8C4076
	v_mfma_f32_16x16x32_fp8_fp8 v[88:91], a[160:161], a[72:73], v[88:91]// 000000005B9C: D3F30058 1D6291A0
	v_mfma_f32_16x16x32_fp8_fp8 v[88:91], a[162:163], a[74:75], v[88:91]// 000000005BA4: D3F30058 1D6295A2
	buffer_load_dwordx4 a[144:147], v84, s[24:27], 0 offen     // 000000005BAC: E05C1000 80869054
	v_mfma_f32_16x16x32_fp8_fp8 v[88:91], a[164:165], a[76:77], v[88:91]// 000000005BB4: D3F30058 1D6299A4
	v_mfma_f32_16x16x32_fp8_fp8 v[88:91], a[166:167], a[78:79], v[88:91]// 000000005BBC: D3F30058 1D629DA6
	v_mfma_f32_16x16x32_fp8_fp8 v[124:127], a[168:169], a[72:73], v[124:127]// 000000005BC4: D3F3007C 1DF291A8
	v_mfma_f32_16x16x32_fp8_fp8 v[124:127], a[170:171], a[74:75], v[124:127]// 000000005BCC: D3F3007C 1DF295AA
	buffer_load_dwordx4 a[148:151], v84, s[24:27], 0 offen offset:1024// 000000005BD4: E05C1400 80869454
	v_mfma_f32_16x16x32_fp8_fp8 v[124:127], a[172:173], a[76:77], v[124:127]// 000000005BDC: D3F3007C 1DF299AC
	v_mfma_f32_16x16x32_fp8_fp8 v[124:127], a[174:175], a[78:79], v[124:127]// 000000005BE4: D3F3007C 1DF29DAE
	v_mfma_f32_16x16x32_fp8_fp8 v[92:95], a[160:161], a[80:81], v[92:95]// 000000005BEC: D3F3005C 1D72A1A0
	v_mfma_f32_16x16x32_fp8_fp8 v[92:95], a[162:163], a[82:83], v[92:95]// 000000005BF4: D3F3005C 1D72A5A2
	buffer_load_dwordx4 a[152:155], v85, s[24:27], 0 offen     // 000000005BFC: E05C1000 80869855
	v_mfma_f32_16x16x32_fp8_fp8 v[92:95], a[164:165], a[84:85], v[92:95]// 000000005C04: D3F3005C 1D72A9A4
	v_mfma_f32_16x16x32_fp8_fp8 v[92:95], a[166:167], a[86:87], v[92:95]// 000000005C0C: D3F3005C 1D72ADA6
	v_mfma_f32_16x16x32_fp8_fp8 v[128:131], a[168:169], a[80:81], v[128:131]// 000000005C14: D3F30080 1E02A1A8
	v_mfma_f32_16x16x32_fp8_fp8 v[128:131], a[170:171], a[82:83], v[128:131]// 000000005C1C: D3F30080 1E02A5AA
	buffer_load_dwordx4 a[156:159], v85, s[24:27], 0 offen offset:1024// 000000005C24: E05C1400 80869C55
	buffer_load_dword v66, s[20:23], 0 offen lds               // 000000005C2C: E0511000 80050042
	s_add_u32 m0, 0x100, s49                                   // 000000005C34: 807C31FF 00000100
	v_mfma_f32_16x16x32_fp8_fp8 v[128:131], a[172:173], a[84:85], v[128:131]// 000000005C3C: D3F30080 1E02A9AC
	v_mfma_f32_16x16x32_fp8_fp8 v[128:131], a[174:175], a[86:87], v[128:131]// 000000005C44: D3F30080 1E02ADAE
	buffer_load_dword v67, s[20:23], 0 offen lds               // 000000005C4C: E0511000 80050043
	s_add_u32 m0, 0x200, s49                                   // 000000005C54: 807C31FF 00000200
	v_mfma_f32_16x16x32_fp8_fp8 v[96:99], a[160:161], a[88:89], v[96:99]// 000000005C5C: D3F30060 1D82B1A0
	v_mfma_f32_16x16x32_fp8_fp8 v[96:99], a[162:163], a[90:91], v[96:99]// 000000005C64: D3F30060 1D82B5A2
	buffer_load_dword v68, s[20:23], 0 offen lds               // 000000005C6C: E0511000 80050044
	s_add_u32 m0, 0x300, s49                                   // 000000005C74: 807C31FF 00000300
	v_mfma_f32_16x16x32_fp8_fp8 v[96:99], a[164:165], a[92:93], v[96:99]// 000000005C7C: D3F30060 1D82B9A4
	v_mfma_f32_16x16x32_fp8_fp8 v[96:99], a[166:167], a[94:95], v[96:99]// 000000005C84: D3F30060 1D82BDA6
	buffer_load_dword v69, s[20:23], 0 offen lds               // 000000005C8C: E0511000 80050045
	s_add_u32 m0, 0x400, s49                                   // 000000005C94: 807C31FF 00000400
	v_mfma_f32_16x16x32_fp8_fp8 v[132:135], a[168:169], a[88:89], v[132:135]// 000000005C9C: D3F30084 1E12B1A8
	v_mfma_f32_16x16x32_fp8_fp8 v[132:135], a[170:171], a[90:91], v[132:135]// 000000005CA4: D3F30084 1E12B5AA
	buffer_load_dword v70, s[20:23], 0 offen lds               // 000000005CAC: E0511000 80050046
	s_add_u32 m0, 0x500, s49                                   // 000000005CB4: 807C31FF 00000500
	v_mfma_f32_16x16x32_fp8_fp8 v[132:135], a[172:173], a[92:93], v[132:135]// 000000005CBC: D3F30084 1E12B9AC
	v_mfma_f32_16x16x32_fp8_fp8 v[132:135], a[174:175], a[94:95], v[132:135]// 000000005CC4: D3F30084 1E12BDAE
	buffer_load_dword v71, s[20:23], 0 offen lds               // 000000005CCC: E0511000 80050047
	s_add_u32 m0, 0x600, s49                                   // 000000005CD4: 807C31FF 00000600
	v_mfma_f32_16x16x32_fp8_fp8 v[100:103], a[160:161], a[96:97], v[100:103]// 000000005CDC: D3F30064 1D92C1A0
	v_mfma_f32_16x16x32_fp8_fp8 v[100:103], a[162:163], a[98:99], v[100:103]// 000000005CE4: D3F30064 1D92C5A2
	buffer_load_dword v72, s[20:23], 0 offen lds               // 000000005CEC: E0511000 80050048
	s_add_u32 m0, 0x700, s49                                   // 000000005CF4: 807C31FF 00000700
	v_mfma_f32_16x16x32_fp8_fp8 v[100:103], a[164:165], a[100:101], v[100:103]// 000000005CFC: D3F30064 1D92C9A4
	v_mfma_f32_16x16x32_fp8_fp8 v[100:103], a[166:167], a[102:103], v[100:103]// 000000005D04: D3F30064 1D92CDA6
	buffer_load_dword v73, s[20:23], 0 offen lds               // 000000005D0C: E0511000 80050049
	s_add_u32 m0, 0x800, s49                                   // 000000005D14: 807C31FF 00000800
	v_mfma_f32_16x16x32_fp8_fp8 v[136:139], a[168:169], a[96:97], v[136:139]// 000000005D1C: D3F30088 1E22C1A8
	v_mfma_f32_16x16x32_fp8_fp8 v[136:139], a[170:171], a[98:99], v[136:139]// 000000005D24: D3F30088 1E22C5AA
	buffer_load_dword v74, s[20:23], 0 offen lds               // 000000005D2C: E0511000 8005004A
	s_add_u32 m0, 0x900, s49                                   // 000000005D34: 807C31FF 00000900
	v_mfma_f32_16x16x32_fp8_fp8 v[136:139], a[172:173], a[100:101], v[136:139]// 000000005D3C: D3F30088 1E22C9AC
	v_mfma_f32_16x16x32_fp8_fp8 v[136:139], a[174:175], a[102:103], v[136:139]// 000000005D44: D3F30088 1E22CDAE
	buffer_load_dword v75, s[20:23], 0 offen lds               // 000000005D4C: E0511000 8005004B
	s_add_u32 m0, 0xa00, s49                                   // 000000005D54: 807C31FF 00000A00
	v_mfma_f32_16x16x32_fp8_fp8 v[104:107], a[160:161], a[104:105], v[104:107]// 000000005D5C: D3F30068 1DA2D1A0
	v_mfma_f32_16x16x32_fp8_fp8 v[104:107], a[162:163], a[106:107], v[104:107]// 000000005D64: D3F30068 1DA2D5A2
	buffer_load_dword v76, s[20:23], 0 offen lds               // 000000005D6C: E0511000 8005004C
	s_add_u32 m0, 0xb00, s49                                   // 000000005D74: 807C31FF 00000B00
	v_mfma_f32_16x16x32_fp8_fp8 v[104:107], a[164:165], a[108:109], v[104:107]// 000000005D7C: D3F30068 1DA2D9A4
	v_mfma_f32_16x16x32_fp8_fp8 v[104:107], a[166:167], a[110:111], v[104:107]// 000000005D84: D3F30068 1DA2DDA6
	buffer_load_dword v77, s[20:23], 0 offen lds               // 000000005D8C: E0511000 8005004D
	s_add_u32 m0, 0xc00, s49                                   // 000000005D94: 807C31FF 00000C00
	v_mfma_f32_16x16x32_fp8_fp8 v[140:143], a[168:169], a[104:105], v[140:143]// 000000005D9C: D3F3008C 1E32D1A8
	v_mfma_f32_16x16x32_fp8_fp8 v[140:143], a[170:171], a[106:107], v[140:143]// 000000005DA4: D3F3008C 1E32D5AA
	buffer_load_dword v78, s[20:23], 0 offen lds               // 000000005DAC: E0511000 8005004E
	s_add_u32 m0, 0xd00, s49                                   // 000000005DB4: 807C31FF 00000D00
	v_mfma_f32_16x16x32_fp8_fp8 v[140:143], a[172:173], a[108:109], v[140:143]// 000000005DBC: D3F3008C 1E32D9AC
	v_mfma_f32_16x16x32_fp8_fp8 v[140:143], a[174:175], a[110:111], v[140:143]// 000000005DC4: D3F3008C 1E32DDAE
	buffer_load_dword v79, s[20:23], 0 offen lds               // 000000005DCC: E0511000 8005004F
	s_add_u32 m0, 0xe00, s49                                   // 000000005DD4: 807C31FF 00000E00
	v_mfma_f32_16x16x32_fp8_fp8 v[108:111], a[160:161], a[112:113], v[108:111]// 000000005DDC: D3F3006C 1DB2E1A0
	v_mfma_f32_16x16x32_fp8_fp8 v[108:111], a[162:163], a[114:115], v[108:111]// 000000005DE4: D3F3006C 1DB2E5A2
	buffer_load_dword v80, s[20:23], 0 offen lds               // 000000005DEC: E0511000 80050050
	s_add_u32 m0, 0xf00, s49                                   // 000000005DF4: 807C31FF 00000F00
	v_mfma_f32_16x16x32_fp8_fp8 v[108:111], a[164:165], a[116:117], v[108:111]// 000000005DFC: D3F3006C 1DB2E9A4
	v_mfma_f32_16x16x32_fp8_fp8 v[108:111], a[166:167], a[118:119], v[108:111]// 000000005E04: D3F3006C 1DB2EDA6
	buffer_load_dword v81, s[20:23], 0 offen lds               // 000000005E0C: E0511000 80050051
	s_add_u32 m0, 0x1000, s49                                  // 000000005E14: 807C31FF 00001000
	v_mfma_f32_16x16x32_fp8_fp8 v[144:147], a[168:169], a[112:113], v[144:147]// 000000005E1C: D3F30090 1E42E1A8
	v_mfma_f32_16x16x32_fp8_fp8 v[144:147], a[170:171], a[114:115], v[144:147]// 000000005E24: D3F30090 1E42E5AA
	buffer_load_dword v82, s[20:23], 0 offen lds               // 000000005E2C: E0511000 80050052
	s_add_u32 m0, 0x1100, s49                                  // 000000005E34: 807C31FF 00001100
	v_mfma_f32_16x16x32_fp8_fp8 v[144:147], a[172:173], a[116:117], v[144:147]// 000000005E3C: D3F30090 1E42E9AC
	v_mfma_f32_16x16x32_fp8_fp8 v[144:147], a[174:175], a[118:119], v[144:147]// 000000005E44: D3F30090 1E42EDAE
	buffer_load_dword v83, s[20:23], 0 offen lds               // 000000005E4C: E0511000 80050053
	s_add_u32 m0, 0, s50                                       // 000000005E54: 807C3280
	v_mfma_f32_16x16x32_fp8_fp8 v[112:115], a[160:161], a[120:121], v[112:115]// 000000005E58: D3F30070 1DC2F1A0
	v_mfma_f32_16x16x32_fp8_fp8 v[112:115], a[162:163], a[122:123], v[112:115]// 000000005E60: D3F30070 1DC2F5A2
	v_mfma_f32_16x16x32_fp8_fp8 v[112:115], a[164:165], a[124:125], v[112:115]// 000000005E68: D3F30070 1DC2F9A4
	v_mfma_f32_16x16x32_fp8_fp8 v[112:115], a[166:167], a[126:127], v[112:115]// 000000005E70: D3F30070 1DC2FDA6
	v_mfma_f32_16x16x32_fp8_fp8 v[148:151], a[168:169], a[120:121], v[148:151]// 000000005E78: D3F30094 1E52F1A8
	v_mfma_f32_16x16x32_fp8_fp8 v[148:151], a[170:171], a[122:123], v[148:151]// 000000005E80: D3F30094 1E52F5AA
	v_mfma_f32_16x16x32_fp8_fp8 v[148:151], a[172:173], a[124:125], v[148:151]// 000000005E88: D3F30094 1E52F9AC
	v_mfma_f32_16x16x32_fp8_fp8 v[148:151], a[174:175], a[126:127], v[148:151]// 000000005E90: D3F30094 1E52FDAE
	v_mfma_f32_16x16x32_fp8_fp8 v[116:119], a[160:161], a[128:129], v[116:119]// 000000005E98: D3F30074 1DD301A0
	v_mfma_f32_16x16x32_fp8_fp8 v[116:119], a[162:163], a[130:131], v[116:119]// 000000005EA0: D3F30074 1DD305A2
	v_mfma_f32_16x16x32_fp8_fp8 v[116:119], a[164:165], a[132:133], v[116:119]// 000000005EA8: D3F30074 1DD309A4
	v_mfma_f32_16x16x32_fp8_fp8 v[116:119], a[166:167], a[134:135], v[116:119]// 000000005EB0: D3F30074 1DD30DA6
	v_mfma_f32_16x16x32_fp8_fp8 v[152:155], a[168:169], a[128:129], v[152:155]// 000000005EB8: D3F30098 1E6301A8
	v_mfma_f32_16x16x32_fp8_fp8 v[152:155], a[170:171], a[130:131], v[152:155]// 000000005EC0: D3F30098 1E6305AA
	v_mfma_f32_16x16x32_fp8_fp8 v[152:155], a[172:173], a[132:133], v[152:155]// 000000005EC8: D3F30098 1E6309AC
	v_mfma_f32_16x16x32_fp8_fp8 v[152:155], a[174:175], a[134:135], v[152:155]// 000000005ED0: D3F30098 1E630DAE
	v_mfma_f32_16x16x32_fp8_fp8 v[120:123], a[160:161], a[136:137], v[120:123]// 000000005ED8: D3F30078 1DE311A0
	v_mfma_f32_16x16x32_fp8_fp8 v[120:123], a[162:163], a[138:139], v[120:123]// 000000005EE0: D3F30078 1DE315A2
	v_mfma_f32_16x16x32_fp8_fp8 v[120:123], a[164:165], a[140:141], v[120:123]// 000000005EE8: D3F30078 1DE319A4
	v_mfma_f32_16x16x32_fp8_fp8 v[120:123], a[166:167], a[142:143], v[120:123]// 000000005EF0: D3F30078 1DE31DA6
	v_mfma_f32_16x16x32_fp8_fp8 v[156:159], a[168:169], a[136:137], v[156:159]// 000000005EF8: D3F3009C 1E7311A8
	v_mfma_f32_16x16x32_fp8_fp8 v[156:159], a[170:171], a[138:139], v[156:159]// 000000005F00: D3F3009C 1E7315AA
	v_mfma_f32_16x16x32_fp8_fp8 v[156:159], a[172:173], a[140:141], v[156:159]// 000000005F08: D3F3009C 1E7319AC
	v_mfma_f32_16x16x32_fp8_fp8 v[156:159], a[174:175], a[142:143], v[156:159]// 000000005F10: D3F3009C 1E731DAE
	s_waitcnt vmcnt(22)                                        // 000000005F18: BF8C4F76
	s_barrier                                                  // 000000005F1C: BF8A0000
	v_mfma_f32_16x16x32_fp8_fp8 v[160:163], a[176:177], a[72:73], v[160:163]// 000000005F20: D3F300A0 1E8291B0
	v_mfma_f32_16x16x32_fp8_fp8 v[160:163], a[178:179], a[74:75], v[160:163]// 000000005F28: D3F300A0 1E8295B2
	buffer_load_dwordx4 a[160:163], v84, s[84:87], 0 offen     // 000000005F30: E05C1000 8095A054
	v_mfma_f32_16x16x32_fp8_fp8 v[160:163], a[180:181], a[76:77], v[160:163]// 000000005F38: D3F300A0 1E8299B4
	v_mfma_f32_16x16x32_fp8_fp8 v[160:163], a[182:183], a[78:79], v[160:163]// 000000005F40: D3F300A0 1E829DB6
	ds_read_b128 a[0:3], v2                                    // 000000005F48: DBFE0000 00000002
	ds_read_b128 a[4:7], v2 offset:64                          // 000000005F50: DBFE0040 04000002
	v_mfma_f32_16x16x32_fp8_fp8 v[196:199], a[184:185], a[72:73], v[196:199]// 000000005F58: D3F300C4 1F1291B8
	v_mfma_f32_16x16x32_fp8_fp8 v[196:199], a[186:187], a[74:75], v[196:199]// 000000005F60: D3F300C4 1F1295BA
	buffer_load_dwordx4 a[164:167], v84, s[84:87], 0 offen offset:1024// 000000005F68: E05C1400 8095A454
	v_mfma_f32_16x16x32_fp8_fp8 v[196:199], a[188:189], a[76:77], v[196:199]// 000000005F70: D3F300C4 1F1299BC
	v_mfma_f32_16x16x32_fp8_fp8 v[196:199], a[190:191], a[78:79], v[196:199]// 000000005F78: D3F300C4 1F129DBE
	ds_read_b128 a[8:11], v2 offset:512                        // 000000005F80: DBFE0200 08000002
	ds_read_b128 a[12:15], v2 offset:576                       // 000000005F88: DBFE0240 0C000002
	v_mfma_f32_16x16x32_fp8_fp8 v[164:167], a[176:177], a[80:81], v[164:167]// 000000005F90: D3F300A4 1E92A1B0
	v_mfma_f32_16x16x32_fp8_fp8 v[164:167], a[178:179], a[82:83], v[164:167]// 000000005F98: D3F300A4 1E92A5B2
	buffer_load_dwordx4 a[168:171], v85, s[84:87], 0 offen     // 000000005FA0: E05C1000 8095A855
	v_mfma_f32_16x16x32_fp8_fp8 v[164:167], a[180:181], a[84:85], v[164:167]// 000000005FA8: D3F300A4 1E92A9B4
	v_mfma_f32_16x16x32_fp8_fp8 v[164:167], a[182:183], a[86:87], v[164:167]// 000000005FB0: D3F300A4 1E92ADB6
	ds_read_b128 a[16:19], v2 offset:1024                      // 000000005FB8: DBFE0400 10000002
	ds_read_b128 a[20:23], v2 offset:1088                      // 000000005FC0: DBFE0440 14000002
	v_mfma_f32_16x16x32_fp8_fp8 v[200:203], a[184:185], a[80:81], v[200:203]// 000000005FC8: D3F300C8 1F22A1B8
	v_mfma_f32_16x16x32_fp8_fp8 v[200:203], a[186:187], a[82:83], v[200:203]// 000000005FD0: D3F300C8 1F22A5BA
	buffer_load_dwordx4 a[172:175], v85, s[84:87], 0 offen offset:1024// 000000005FD8: E05C1400 8095AC55
	v_mfma_f32_16x16x32_fp8_fp8 v[200:203], a[188:189], a[84:85], v[200:203]// 000000005FE0: D3F300C8 1F22A9BC
	v_mfma_f32_16x16x32_fp8_fp8 v[200:203], a[190:191], a[86:87], v[200:203]// 000000005FE8: D3F300C8 1F22ADBE
	ds_read_b128 a[24:27], v2 offset:1536                      // 000000005FF0: DBFE0600 18000002
	ds_read_b128 a[28:31], v2 offset:1600                      // 000000005FF8: DBFE0640 1C000002
	v_mfma_f32_16x16x32_fp8_fp8 v[168:171], a[176:177], a[88:89], v[168:171]// 000000006000: D3F300A8 1EA2B1B0
	v_mfma_f32_16x16x32_fp8_fp8 v[168:171], a[178:179], a[90:91], v[168:171]// 000000006008: D3F300A8 1EA2B5B2
	v_mfma_f32_16x16x32_fp8_fp8 v[168:171], a[180:181], a[92:93], v[168:171]// 000000006010: D3F300A8 1EA2B9B4
	v_mfma_f32_16x16x32_fp8_fp8 v[168:171], a[182:183], a[94:95], v[168:171]// 000000006018: D3F300A8 1EA2BDB6
	ds_read_b128 a[32:35], v2 offset:2048                      // 000000006020: DBFE0800 20000002
	ds_read_b128 a[36:39], v2 offset:2112                      // 000000006028: DBFE0840 24000002
	v_mfma_f32_16x16x32_fp8_fp8 v[204:207], a[184:185], a[88:89], v[204:207]// 000000006030: D3F300CC 1F32B1B8
	v_mfma_f32_16x16x32_fp8_fp8 v[204:207], a[186:187], a[90:91], v[204:207]// 000000006038: D3F300CC 1F32B5BA
	v_mfma_f32_16x16x32_fp8_fp8 v[204:207], a[188:189], a[92:93], v[204:207]// 000000006040: D3F300CC 1F32B9BC
	v_mfma_f32_16x16x32_fp8_fp8 v[204:207], a[190:191], a[94:95], v[204:207]// 000000006048: D3F300CC 1F32BDBE
	ds_read_b128 a[40:43], v2 offset:2560                      // 000000006050: DBFE0A00 28000002
	ds_read_b128 a[44:47], v2 offset:2624                      // 000000006058: DBFE0A40 2C000002
	v_mfma_f32_16x16x32_fp8_fp8 v[172:175], a[176:177], a[96:97], v[172:175]// 000000006060: D3F300AC 1EB2C1B0
	v_mfma_f32_16x16x32_fp8_fp8 v[172:175], a[178:179], a[98:99], v[172:175]// 000000006068: D3F300AC 1EB2C5B2
	v_mfma_f32_16x16x32_fp8_fp8 v[172:175], a[180:181], a[100:101], v[172:175]// 000000006070: D3F300AC 1EB2C9B4
	v_mfma_f32_16x16x32_fp8_fp8 v[172:175], a[182:183], a[102:103], v[172:175]// 000000006078: D3F300AC 1EB2CDB6
	ds_read_b128 a[48:51], v2 offset:3072                      // 000000006080: DBFE0C00 30000002
	ds_read_b128 a[52:55], v2 offset:3136                      // 000000006088: DBFE0C40 34000002
	v_mfma_f32_16x16x32_fp8_fp8 v[208:211], a[184:185], a[96:97], v[208:211]// 000000006090: D3F300D0 1F42C1B8
	v_mfma_f32_16x16x32_fp8_fp8 v[208:211], a[186:187], a[98:99], v[208:211]// 000000006098: D3F300D0 1F42C5BA
	v_mfma_f32_16x16x32_fp8_fp8 v[208:211], a[188:189], a[100:101], v[208:211]// 0000000060A0: D3F300D0 1F42C9BC
	v_mfma_f32_16x16x32_fp8_fp8 v[208:211], a[190:191], a[102:103], v[208:211]// 0000000060A8: D3F300D0 1F42CDBE
	ds_read_b128 a[56:59], v2 offset:3584                      // 0000000060B0: DBFE0E00 38000002
	ds_read_b128 a[60:63], v2 offset:3648                      // 0000000060B8: DBFE0E40 3C000002
	v_mfma_f32_16x16x32_fp8_fp8 v[176:179], a[176:177], a[104:105], v[176:179]// 0000000060C0: D3F300B0 1EC2D1B0
	v_mfma_f32_16x16x32_fp8_fp8 v[176:179], a[178:179], a[106:107], v[176:179]// 0000000060C8: D3F300B0 1EC2D5B2
	v_mfma_f32_16x16x32_fp8_fp8 v[176:179], a[180:181], a[108:109], v[176:179]// 0000000060D0: D3F300B0 1EC2D9B4
	v_mfma_f32_16x16x32_fp8_fp8 v[176:179], a[182:183], a[110:111], v[176:179]// 0000000060D8: D3F300B0 1EC2DDB6
	ds_read_b128 a[64:67], v2 offset:4096                      // 0000000060E0: DBFE1000 40000002
	ds_read_b128 a[68:71], v2 offset:4160                      // 0000000060E8: DBFE1040 44000002
	v_mfma_f32_16x16x32_fp8_fp8 v[212:215], a[184:185], a[104:105], v[212:215]// 0000000060F0: D3F300D4 1F52D1B8
	v_mfma_f32_16x16x32_fp8_fp8 v[212:215], a[186:187], a[106:107], v[212:215]// 0000000060F8: D3F300D4 1F52D5BA
	v_mfma_f32_16x16x32_fp8_fp8 v[212:215], a[188:189], a[108:109], v[212:215]// 000000006100: D3F300D4 1F52D9BC
	v_mfma_f32_16x16x32_fp8_fp8 v[212:215], a[190:191], a[110:111], v[212:215]// 000000006108: D3F300D4 1F52DDBE
	v_mfma_f32_16x16x32_fp8_fp8 v[180:183], a[176:177], a[112:113], v[180:183]// 000000006110: D3F300B4 1ED2E1B0
	v_mfma_f32_16x16x32_fp8_fp8 v[180:183], a[178:179], a[114:115], v[180:183]// 000000006118: D3F300B4 1ED2E5B2
	v_mfma_f32_16x16x32_fp8_fp8 v[180:183], a[180:181], a[116:117], v[180:183]// 000000006120: D3F300B4 1ED2E9B4
	v_mfma_f32_16x16x32_fp8_fp8 v[180:183], a[182:183], a[118:119], v[180:183]// 000000006128: D3F300B4 1ED2EDB6
	v_mfma_f32_16x16x32_fp8_fp8 v[216:219], a[184:185], a[112:113], v[216:219]// 000000006130: D3F300D8 1F62E1B8
	v_mfma_f32_16x16x32_fp8_fp8 v[216:219], a[186:187], a[114:115], v[216:219]// 000000006138: D3F300D8 1F62E5BA
	v_mfma_f32_16x16x32_fp8_fp8 v[216:219], a[188:189], a[116:117], v[216:219]// 000000006140: D3F300D8 1F62E9BC
	v_mfma_f32_16x16x32_fp8_fp8 v[216:219], a[190:191], a[118:119], v[216:219]// 000000006148: D3F300D8 1F62EDBE
	v_mfma_f32_16x16x32_fp8_fp8 v[184:187], a[176:177], a[120:121], v[184:187]// 000000006150: D3F300B8 1EE2F1B0
	v_mfma_f32_16x16x32_fp8_fp8 v[184:187], a[178:179], a[122:123], v[184:187]// 000000006158: D3F300B8 1EE2F5B2
	v_mfma_f32_16x16x32_fp8_fp8 v[184:187], a[180:181], a[124:125], v[184:187]// 000000006160: D3F300B8 1EE2F9B4
	v_mfma_f32_16x16x32_fp8_fp8 v[184:187], a[182:183], a[126:127], v[184:187]// 000000006168: D3F300B8 1EE2FDB6
	v_mfma_f32_16x16x32_fp8_fp8 v[220:223], a[184:185], a[120:121], v[220:223]// 000000006170: D3F300DC 1F72F1B8
	v_mfma_f32_16x16x32_fp8_fp8 v[220:223], a[186:187], a[122:123], v[220:223]// 000000006178: D3F300DC 1F72F5BA
	v_mfma_f32_16x16x32_fp8_fp8 v[220:223], a[188:189], a[124:125], v[220:223]// 000000006180: D3F300DC 1F72F9BC
	v_mfma_f32_16x16x32_fp8_fp8 v[220:223], a[190:191], a[126:127], v[220:223]// 000000006188: D3F300DC 1F72FDBE
	v_mfma_f32_16x16x32_fp8_fp8 v[188:191], a[176:177], a[128:129], v[188:191]// 000000006190: D3F300BC 1EF301B0
	v_mfma_f32_16x16x32_fp8_fp8 v[188:191], a[178:179], a[130:131], v[188:191]// 000000006198: D3F300BC 1EF305B2
	v_mfma_f32_16x16x32_fp8_fp8 v[188:191], a[180:181], a[132:133], v[188:191]// 0000000061A0: D3F300BC 1EF309B4
	v_mfma_f32_16x16x32_fp8_fp8 v[188:191], a[182:183], a[134:135], v[188:191]// 0000000061A8: D3F300BC 1EF30DB6
	v_mfma_f32_16x16x32_fp8_fp8 v[224:227], a[184:185], a[128:129], v[224:227]// 0000000061B0: D3F300E0 1F8301B8
	v_mfma_f32_16x16x32_fp8_fp8 v[224:227], a[186:187], a[130:131], v[224:227]// 0000000061B8: D3F300E0 1F8305BA
	v_mfma_f32_16x16x32_fp8_fp8 v[224:227], a[188:189], a[132:133], v[224:227]// 0000000061C0: D3F300E0 1F8309BC
	v_mfma_f32_16x16x32_fp8_fp8 v[224:227], a[190:191], a[134:135], v[224:227]// 0000000061C8: D3F300E0 1F830DBE
	v_mfma_f32_16x16x32_fp8_fp8 v[192:195], a[176:177], a[136:137], v[192:195]// 0000000061D0: D3F300C0 1F0311B0
	s_add_u32 s60, 0x180, s80                                  // 0000000061D8: 803C50FF 00000180
	s_cmp_lt_u32 s60, s81                                      // 0000000061E0: BF0A513C
	s_cselect_b32 s57, s57, 0                                  // 0000000061E4: 85398039
	v_mfma_f32_16x16x32_fp8_fp8 v[192:195], a[178:179], a[138:139], v[192:195]// 0000000061E8: D3F300C0 1F0315B2
	s_add_u32 s60, 0x100, s80                                  // 0000000061F0: 803C50FF 00000100
	s_cmp_lt_u32 s60, s81                                      // 0000000061F8: BF0A513C
	s_cselect_b32 s58, s58, 0                                  // 0000000061FC: 853A803A
	v_mfma_f32_16x16x32_fp8_fp8 v[192:195], a[180:181], a[140:141], v[192:195]// 000000006200: D3F300C0 1F0319B4
	s_add_u32 s60, 0x100, s80                                  // 000000006208: 803C50FF 00000100
	s_cmp_lt_u32 s60, s81                                      // 000000006210: BF0A513C
	s_cselect_b32 s83, s83, 0                                  // 000000006214: 85538053
	v_mfma_f32_16x16x32_fp8_fp8 v[192:195], a[182:183], a[142:143], v[192:195]// 000000006218: D3F300C0 1F031DB6
	s_add_u32 s24, s58, s24                                    // 000000006220: 8018183A
	s_addc_u32 s25, 0, s25                                     // 000000006224: 82191980
	v_mfma_f32_16x16x32_fp8_fp8 v[228:231], a[184:185], a[136:137], v[228:231]// 000000006228: D3F300E4 1F9311B8
	s_add_u32 s20, s57, s20                                    // 000000006230: 80141439
	s_addc_u32 s21, 0, s21                                     // 000000006234: 82151580
	v_mfma_f32_16x16x32_fp8_fp8 v[228:231], a[186:187], a[138:139], v[228:231]// 000000006238: D3F300E4 1F9315BA
	s_add_u32 s84, s83, s84                                    // 000000006240: 80545453
	s_addc_u32 s85, 0, s85                                     // 000000006244: 82555580
	v_mfma_f32_16x16x32_fp8_fp8 v[228:231], a[188:189], a[140:141], v[228:231]// 000000006248: D3F300E4 1F9319BC
	v_mfma_f32_16x16x32_fp8_fp8 v[228:231], a[190:191], a[142:143], v[228:231]// 000000006250: D3F300E4 1F931DBE
	s_addk_i32 s80, 0x80                                       // 000000006258: B7500080
	s_cmp_lt_i32 s80, s81                                      // 00000000625C: BF045150
	s_cbranch_scc0 label_0E1A                                  // 000000006260: BF840001
	s_branch label_03E7                                        // 000000006264: BF82F5CD

0000000000006268 <label_0E1A>:
	v_mul_f32_dpp v88, v24, v88 row_newbcast:0 row_mask:0xf bank_mask:0xf// 000000006268: 0AB0B0FA FF015018
	v_mul_f32_dpp v89, v24, v89 row_newbcast:1 row_mask:0xf bank_mask:0xf// 000000006270: 0AB2B2FA FF015118
	v_mul_f32_dpp v90, v24, v90 row_newbcast:2 row_mask:0xf bank_mask:0xf// 000000006278: 0AB4B4FA FF015218
	v_mul_f32_dpp v91, v24, v91 row_newbcast:3 row_mask:0xf bank_mask:0xf// 000000006280: 0AB6B6FA FF015318
	v_mul_f32_dpp v92, v24, v92 row_newbcast:0 row_mask:0xf bank_mask:0xf// 000000006288: 0AB8B8FA FF015018
	v_mul_f32_dpp v93, v24, v93 row_newbcast:1 row_mask:0xf bank_mask:0xf// 000000006290: 0ABABAFA FF015118
	v_mul_f32_dpp v94, v24, v94 row_newbcast:2 row_mask:0xf bank_mask:0xf// 000000006298: 0ABCBCFA FF015218
	v_mul_f32_dpp v95, v24, v95 row_newbcast:3 row_mask:0xf bank_mask:0xf// 0000000062A0: 0ABEBEFA FF015318
	v_mul_f32_dpp v96, v24, v96 row_newbcast:0 row_mask:0xf bank_mask:0xf// 0000000062A8: 0AC0C0FA FF015018
	v_mul_f32_dpp v97, v24, v97 row_newbcast:1 row_mask:0xf bank_mask:0xf// 0000000062B0: 0AC2C2FA FF015118
	v_mul_f32_dpp v98, v24, v98 row_newbcast:2 row_mask:0xf bank_mask:0xf// 0000000062B8: 0AC4C4FA FF015218
	v_mul_f32_dpp v99, v24, v99 row_newbcast:3 row_mask:0xf bank_mask:0xf// 0000000062C0: 0AC6C6FA FF015318
	v_mul_f32_dpp v100, v24, v100 row_newbcast:0 row_mask:0xf bank_mask:0xf// 0000000062C8: 0AC8C8FA FF015018
	v_mul_f32_dpp v101, v24, v101 row_newbcast:1 row_mask:0xf bank_mask:0xf// 0000000062D0: 0ACACAFA FF015118
	v_mul_f32_dpp v102, v24, v102 row_newbcast:2 row_mask:0xf bank_mask:0xf// 0000000062D8: 0ACCCCFA FF015218
	v_mul_f32_dpp v103, v24, v103 row_newbcast:3 row_mask:0xf bank_mask:0xf// 0000000062E0: 0ACECEFA FF015318
	v_mul_f32_dpp v104, v24, v104 row_newbcast:0 row_mask:0xf bank_mask:0xf// 0000000062E8: 0AD0D0FA FF015018
	v_mul_f32_dpp v105, v24, v105 row_newbcast:1 row_mask:0xf bank_mask:0xf// 0000000062F0: 0AD2D2FA FF015118
	v_mul_f32_dpp v106, v24, v106 row_newbcast:2 row_mask:0xf bank_mask:0xf// 0000000062F8: 0AD4D4FA FF015218
	v_mul_f32_dpp v107, v24, v107 row_newbcast:3 row_mask:0xf bank_mask:0xf// 000000006300: 0AD6D6FA FF015318
	v_mul_f32_dpp v108, v24, v108 row_newbcast:0 row_mask:0xf bank_mask:0xf// 000000006308: 0AD8D8FA FF015018
	v_mul_f32_dpp v109, v24, v109 row_newbcast:1 row_mask:0xf bank_mask:0xf// 000000006310: 0ADADAFA FF015118
	v_mul_f32_dpp v110, v24, v110 row_newbcast:2 row_mask:0xf bank_mask:0xf// 000000006318: 0ADCDCFA FF015218
	v_mul_f32_dpp v111, v24, v111 row_newbcast:3 row_mask:0xf bank_mask:0xf// 000000006320: 0ADEDEFA FF015318
	v_mul_f32_dpp v112, v24, v112 row_newbcast:0 row_mask:0xf bank_mask:0xf// 000000006328: 0AE0E0FA FF015018
	v_mul_f32_dpp v113, v24, v113 row_newbcast:1 row_mask:0xf bank_mask:0xf// 000000006330: 0AE2E2FA FF015118
	v_mul_f32_dpp v114, v24, v114 row_newbcast:2 row_mask:0xf bank_mask:0xf// 000000006338: 0AE4E4FA FF015218
	v_mul_f32_dpp v115, v24, v115 row_newbcast:3 row_mask:0xf bank_mask:0xf// 000000006340: 0AE6E6FA FF015318
	v_mul_f32_dpp v116, v24, v116 row_newbcast:0 row_mask:0xf bank_mask:0xf// 000000006348: 0AE8E8FA FF015018
	v_mul_f32_dpp v117, v24, v117 row_newbcast:1 row_mask:0xf bank_mask:0xf// 000000006350: 0AEAEAFA FF015118
	v_mul_f32_dpp v118, v24, v118 row_newbcast:2 row_mask:0xf bank_mask:0xf// 000000006358: 0AECECFA FF015218
	v_mul_f32_dpp v119, v24, v119 row_newbcast:3 row_mask:0xf bank_mask:0xf// 000000006360: 0AEEEEFA FF015318
	v_mul_f32_dpp v120, v24, v120 row_newbcast:0 row_mask:0xf bank_mask:0xf// 000000006368: 0AF0F0FA FF015018
	v_mul_f32_dpp v121, v24, v121 row_newbcast:1 row_mask:0xf bank_mask:0xf// 000000006370: 0AF2F2FA FF015118
	v_mul_f32_dpp v122, v24, v122 row_newbcast:2 row_mask:0xf bank_mask:0xf// 000000006378: 0AF4F4FA FF015218
	v_mul_f32_dpp v123, v24, v123 row_newbcast:3 row_mask:0xf bank_mask:0xf// 000000006380: 0AF6F6FA FF015318
	v_mul_f32_dpp v124, v24, v124 row_newbcast:4 row_mask:0xf bank_mask:0xf// 000000006388: 0AF8F8FA FF015418
	v_mul_f32_dpp v125, v24, v125 row_newbcast:5 row_mask:0xf bank_mask:0xf// 000000006390: 0AFAFAFA FF015518
	v_mul_f32_dpp v126, v24, v126 row_newbcast:6 row_mask:0xf bank_mask:0xf// 000000006398: 0AFCFCFA FF015618
	v_mul_f32_dpp v127, v24, v127 row_newbcast:7 row_mask:0xf bank_mask:0xf// 0000000063A0: 0AFEFEFA FF015718
	v_mul_f32_dpp v128, v24, v128 row_newbcast:4 row_mask:0xf bank_mask:0xf// 0000000063A8: 0B0100FA FF015418
	v_mul_f32_dpp v129, v24, v129 row_newbcast:5 row_mask:0xf bank_mask:0xf// 0000000063B0: 0B0302FA FF015518
	v_mul_f32_dpp v130, v24, v130 row_newbcast:6 row_mask:0xf bank_mask:0xf// 0000000063B8: 0B0504FA FF015618
	v_mul_f32_dpp v131, v24, v131 row_newbcast:7 row_mask:0xf bank_mask:0xf// 0000000063C0: 0B0706FA FF015718
	v_mul_f32_dpp v132, v24, v132 row_newbcast:4 row_mask:0xf bank_mask:0xf// 0000000063C8: 0B0908FA FF015418
	v_mul_f32_dpp v133, v24, v133 row_newbcast:5 row_mask:0xf bank_mask:0xf// 0000000063D0: 0B0B0AFA FF015518
	v_mul_f32_dpp v134, v24, v134 row_newbcast:6 row_mask:0xf bank_mask:0xf// 0000000063D8: 0B0D0CFA FF015618
	v_mul_f32_dpp v135, v24, v135 row_newbcast:7 row_mask:0xf bank_mask:0xf// 0000000063E0: 0B0F0EFA FF015718
	v_mul_f32_dpp v136, v24, v136 row_newbcast:4 row_mask:0xf bank_mask:0xf// 0000000063E8: 0B1110FA FF015418
	v_mul_f32_dpp v137, v24, v137 row_newbcast:5 row_mask:0xf bank_mask:0xf// 0000000063F0: 0B1312FA FF015518
	v_mul_f32_dpp v138, v24, v138 row_newbcast:6 row_mask:0xf bank_mask:0xf// 0000000063F8: 0B1514FA FF015618
	v_mul_f32_dpp v139, v24, v139 row_newbcast:7 row_mask:0xf bank_mask:0xf// 000000006400: 0B1716FA FF015718
	v_mul_f32_dpp v140, v24, v140 row_newbcast:4 row_mask:0xf bank_mask:0xf// 000000006408: 0B1918FA FF015418
	v_mul_f32_dpp v141, v24, v141 row_newbcast:5 row_mask:0xf bank_mask:0xf// 000000006410: 0B1B1AFA FF015518
	v_mul_f32_dpp v142, v24, v142 row_newbcast:6 row_mask:0xf bank_mask:0xf// 000000006418: 0B1D1CFA FF015618
	v_mul_f32_dpp v143, v24, v143 row_newbcast:7 row_mask:0xf bank_mask:0xf// 000000006420: 0B1F1EFA FF015718
	v_mul_f32_dpp v144, v24, v144 row_newbcast:4 row_mask:0xf bank_mask:0xf// 000000006428: 0B2120FA FF015418
	v_mul_f32_dpp v145, v24, v145 row_newbcast:5 row_mask:0xf bank_mask:0xf// 000000006430: 0B2322FA FF015518
	v_mul_f32_dpp v146, v24, v146 row_newbcast:6 row_mask:0xf bank_mask:0xf// 000000006438: 0B2524FA FF015618
	v_mul_f32_dpp v147, v24, v147 row_newbcast:7 row_mask:0xf bank_mask:0xf// 000000006440: 0B2726FA FF015718
	v_mul_f32_dpp v148, v24, v148 row_newbcast:4 row_mask:0xf bank_mask:0xf// 000000006448: 0B2928FA FF015418
	v_mul_f32_dpp v149, v24, v149 row_newbcast:5 row_mask:0xf bank_mask:0xf// 000000006450: 0B2B2AFA FF015518
	v_mul_f32_dpp v150, v24, v150 row_newbcast:6 row_mask:0xf bank_mask:0xf// 000000006458: 0B2D2CFA FF015618
	v_mul_f32_dpp v151, v24, v151 row_newbcast:7 row_mask:0xf bank_mask:0xf// 000000006460: 0B2F2EFA FF015718
	v_mul_f32_dpp v152, v24, v152 row_newbcast:4 row_mask:0xf bank_mask:0xf// 000000006468: 0B3130FA FF015418
	v_mul_f32_dpp v153, v24, v153 row_newbcast:5 row_mask:0xf bank_mask:0xf// 000000006470: 0B3332FA FF015518
	v_mul_f32_dpp v154, v24, v154 row_newbcast:6 row_mask:0xf bank_mask:0xf// 000000006478: 0B3534FA FF015618
	v_mul_f32_dpp v155, v24, v155 row_newbcast:7 row_mask:0xf bank_mask:0xf// 000000006480: 0B3736FA FF015718
	v_mul_f32_dpp v156, v24, v156 row_newbcast:4 row_mask:0xf bank_mask:0xf// 000000006488: 0B3938FA FF015418
	v_mul_f32_dpp v157, v24, v157 row_newbcast:5 row_mask:0xf bank_mask:0xf// 000000006490: 0B3B3AFA FF015518
	v_mul_f32_dpp v158, v24, v158 row_newbcast:6 row_mask:0xf bank_mask:0xf// 000000006498: 0B3D3CFA FF015618
	v_mul_f32_dpp v159, v24, v159 row_newbcast:7 row_mask:0xf bank_mask:0xf// 0000000064A0: 0B3F3EFA FF015718
	v_mul_f32_dpp v160, v27, v160 row_newbcast:0 row_mask:0xf bank_mask:0xf// 0000000064A8: 0B4140FA FF01501B
	v_mul_f32_dpp v161, v27, v161 row_newbcast:1 row_mask:0xf bank_mask:0xf// 0000000064B0: 0B4342FA FF01511B
	v_mul_f32_dpp v162, v27, v162 row_newbcast:2 row_mask:0xf bank_mask:0xf// 0000000064B8: 0B4544FA FF01521B
	v_mul_f32_dpp v163, v27, v163 row_newbcast:3 row_mask:0xf bank_mask:0xf// 0000000064C0: 0B4746FA FF01531B
	v_mul_f32_dpp v164, v27, v164 row_newbcast:0 row_mask:0xf bank_mask:0xf// 0000000064C8: 0B4948FA FF01501B
	v_mul_f32_dpp v165, v27, v165 row_newbcast:1 row_mask:0xf bank_mask:0xf// 0000000064D0: 0B4B4AFA FF01511B
	v_mul_f32_dpp v166, v27, v166 row_newbcast:2 row_mask:0xf bank_mask:0xf// 0000000064D8: 0B4D4CFA FF01521B
	v_mul_f32_dpp v167, v27, v167 row_newbcast:3 row_mask:0xf bank_mask:0xf// 0000000064E0: 0B4F4EFA FF01531B
	v_mul_f32_dpp v168, v27, v168 row_newbcast:0 row_mask:0xf bank_mask:0xf// 0000000064E8: 0B5150FA FF01501B
	v_mul_f32_dpp v169, v27, v169 row_newbcast:1 row_mask:0xf bank_mask:0xf// 0000000064F0: 0B5352FA FF01511B
	v_mul_f32_dpp v170, v27, v170 row_newbcast:2 row_mask:0xf bank_mask:0xf// 0000000064F8: 0B5554FA FF01521B
	v_mul_f32_dpp v171, v27, v171 row_newbcast:3 row_mask:0xf bank_mask:0xf// 000000006500: 0B5756FA FF01531B
	v_mul_f32_dpp v172, v27, v172 row_newbcast:0 row_mask:0xf bank_mask:0xf// 000000006508: 0B5958FA FF01501B
	v_mul_f32_dpp v173, v27, v173 row_newbcast:1 row_mask:0xf bank_mask:0xf// 000000006510: 0B5B5AFA FF01511B
	v_mul_f32_dpp v174, v27, v174 row_newbcast:2 row_mask:0xf bank_mask:0xf// 000000006518: 0B5D5CFA FF01521B
	v_mul_f32_dpp v175, v27, v175 row_newbcast:3 row_mask:0xf bank_mask:0xf// 000000006520: 0B5F5EFA FF01531B
	v_mul_f32_dpp v176, v27, v176 row_newbcast:0 row_mask:0xf bank_mask:0xf// 000000006528: 0B6160FA FF01501B
	v_mul_f32_dpp v177, v27, v177 row_newbcast:1 row_mask:0xf bank_mask:0xf// 000000006530: 0B6362FA FF01511B
	v_mul_f32_dpp v178, v27, v178 row_newbcast:2 row_mask:0xf bank_mask:0xf// 000000006538: 0B6564FA FF01521B
	v_mul_f32_dpp v179, v27, v179 row_newbcast:3 row_mask:0xf bank_mask:0xf// 000000006540: 0B6766FA FF01531B
	v_mul_f32_dpp v180, v27, v180 row_newbcast:0 row_mask:0xf bank_mask:0xf// 000000006548: 0B6968FA FF01501B
	v_mul_f32_dpp v181, v27, v181 row_newbcast:1 row_mask:0xf bank_mask:0xf// 000000006550: 0B6B6AFA FF01511B
	v_mul_f32_dpp v182, v27, v182 row_newbcast:2 row_mask:0xf bank_mask:0xf// 000000006558: 0B6D6CFA FF01521B
	v_mul_f32_dpp v183, v27, v183 row_newbcast:3 row_mask:0xf bank_mask:0xf// 000000006560: 0B6F6EFA FF01531B
	v_mul_f32_dpp v184, v27, v184 row_newbcast:0 row_mask:0xf bank_mask:0xf// 000000006568: 0B7170FA FF01501B
	v_mul_f32_dpp v185, v27, v185 row_newbcast:1 row_mask:0xf bank_mask:0xf// 000000006570: 0B7372FA FF01511B
	v_mul_f32_dpp v186, v27, v186 row_newbcast:2 row_mask:0xf bank_mask:0xf// 000000006578: 0B7574FA FF01521B
	v_mul_f32_dpp v187, v27, v187 row_newbcast:3 row_mask:0xf bank_mask:0xf// 000000006580: 0B7776FA FF01531B
	v_mul_f32_dpp v188, v27, v188 row_newbcast:0 row_mask:0xf bank_mask:0xf// 000000006588: 0B7978FA FF01501B
	v_mul_f32_dpp v189, v27, v189 row_newbcast:1 row_mask:0xf bank_mask:0xf// 000000006590: 0B7B7AFA FF01511B
	v_mul_f32_dpp v190, v27, v190 row_newbcast:2 row_mask:0xf bank_mask:0xf// 000000006598: 0B7D7CFA FF01521B
	v_mul_f32_dpp v191, v27, v191 row_newbcast:3 row_mask:0xf bank_mask:0xf// 0000000065A0: 0B7F7EFA FF01531B
	v_mul_f32_dpp v192, v27, v192 row_newbcast:0 row_mask:0xf bank_mask:0xf// 0000000065A8: 0B8180FA FF01501B
	v_mul_f32_dpp v193, v27, v193 row_newbcast:1 row_mask:0xf bank_mask:0xf// 0000000065B0: 0B8382FA FF01511B
	v_mul_f32_dpp v194, v27, v194 row_newbcast:2 row_mask:0xf bank_mask:0xf// 0000000065B8: 0B8584FA FF01521B
	v_mul_f32_dpp v195, v27, v195 row_newbcast:3 row_mask:0xf bank_mask:0xf// 0000000065C0: 0B8786FA FF01531B
	v_mul_f32_dpp v196, v27, v196 row_newbcast:4 row_mask:0xf bank_mask:0xf// 0000000065C8: 0B8988FA FF01541B
	v_mul_f32_dpp v197, v27, v197 row_newbcast:5 row_mask:0xf bank_mask:0xf// 0000000065D0: 0B8B8AFA FF01551B
	v_mul_f32_dpp v198, v27, v198 row_newbcast:6 row_mask:0xf bank_mask:0xf// 0000000065D8: 0B8D8CFA FF01561B
	v_mul_f32_dpp v199, v27, v199 row_newbcast:7 row_mask:0xf bank_mask:0xf// 0000000065E0: 0B8F8EFA FF01571B
	v_mul_f32_dpp v200, v27, v200 row_newbcast:4 row_mask:0xf bank_mask:0xf// 0000000065E8: 0B9190FA FF01541B
	v_mul_f32_dpp v201, v27, v201 row_newbcast:5 row_mask:0xf bank_mask:0xf// 0000000065F0: 0B9392FA FF01551B
	v_mul_f32_dpp v202, v27, v202 row_newbcast:6 row_mask:0xf bank_mask:0xf// 0000000065F8: 0B9594FA FF01561B
	v_mul_f32_dpp v203, v27, v203 row_newbcast:7 row_mask:0xf bank_mask:0xf// 000000006600: 0B9796FA FF01571B
	v_mul_f32_dpp v204, v27, v204 row_newbcast:4 row_mask:0xf bank_mask:0xf// 000000006608: 0B9998FA FF01541B
	v_mul_f32_dpp v205, v27, v205 row_newbcast:5 row_mask:0xf bank_mask:0xf// 000000006610: 0B9B9AFA FF01551B
	v_mul_f32_dpp v206, v27, v206 row_newbcast:6 row_mask:0xf bank_mask:0xf// 000000006618: 0B9D9CFA FF01561B
	v_mul_f32_dpp v207, v27, v207 row_newbcast:7 row_mask:0xf bank_mask:0xf// 000000006620: 0B9F9EFA FF01571B
	v_mul_f32_dpp v208, v27, v208 row_newbcast:4 row_mask:0xf bank_mask:0xf// 000000006628: 0BA1A0FA FF01541B
	v_mul_f32_dpp v209, v27, v209 row_newbcast:5 row_mask:0xf bank_mask:0xf// 000000006630: 0BA3A2FA FF01551B
	v_mul_f32_dpp v210, v27, v210 row_newbcast:6 row_mask:0xf bank_mask:0xf// 000000006638: 0BA5A4FA FF01561B
	v_mul_f32_dpp v211, v27, v211 row_newbcast:7 row_mask:0xf bank_mask:0xf// 000000006640: 0BA7A6FA FF01571B
	v_mul_f32_dpp v212, v27, v212 row_newbcast:4 row_mask:0xf bank_mask:0xf// 000000006648: 0BA9A8FA FF01541B
	v_mul_f32_dpp v213, v27, v213 row_newbcast:5 row_mask:0xf bank_mask:0xf// 000000006650: 0BABAAFA FF01551B
	v_mul_f32_dpp v214, v27, v214 row_newbcast:6 row_mask:0xf bank_mask:0xf// 000000006658: 0BADACFA FF01561B
	v_mul_f32_dpp v215, v27, v215 row_newbcast:7 row_mask:0xf bank_mask:0xf// 000000006660: 0BAFAEFA FF01571B
	v_mul_f32_dpp v216, v27, v216 row_newbcast:4 row_mask:0xf bank_mask:0xf// 000000006668: 0BB1B0FA FF01541B
	v_mul_f32_dpp v217, v27, v217 row_newbcast:5 row_mask:0xf bank_mask:0xf// 000000006670: 0BB3B2FA FF01551B
	v_mul_f32_dpp v218, v27, v218 row_newbcast:6 row_mask:0xf bank_mask:0xf// 000000006678: 0BB5B4FA FF01561B
	v_mul_f32_dpp v219, v27, v219 row_newbcast:7 row_mask:0xf bank_mask:0xf// 000000006680: 0BB7B6FA FF01571B
	v_mul_f32_dpp v220, v27, v220 row_newbcast:4 row_mask:0xf bank_mask:0xf// 000000006688: 0BB9B8FA FF01541B
	v_mul_f32_dpp v221, v27, v221 row_newbcast:5 row_mask:0xf bank_mask:0xf// 000000006690: 0BBBBAFA FF01551B
	v_mul_f32_dpp v222, v27, v222 row_newbcast:6 row_mask:0xf bank_mask:0xf// 000000006698: 0BBDBCFA FF01561B
	v_mul_f32_dpp v223, v27, v223 row_newbcast:7 row_mask:0xf bank_mask:0xf// 0000000066A0: 0BBFBEFA FF01571B
	v_mul_f32_dpp v224, v27, v224 row_newbcast:4 row_mask:0xf bank_mask:0xf// 0000000066A8: 0BC1C0FA FF01541B
	v_mul_f32_dpp v225, v27, v225 row_newbcast:5 row_mask:0xf bank_mask:0xf// 0000000066B0: 0BC3C2FA FF01551B
	v_mul_f32_dpp v226, v27, v226 row_newbcast:6 row_mask:0xf bank_mask:0xf// 0000000066B8: 0BC5C4FA FF01561B
	v_mul_f32_dpp v227, v27, v227 row_newbcast:7 row_mask:0xf bank_mask:0xf// 0000000066C0: 0BC7C6FA FF01571B
	v_mul_f32_dpp v228, v27, v228 row_newbcast:4 row_mask:0xf bank_mask:0xf// 0000000066C8: 0BC9C8FA FF01541B
	v_mul_f32_dpp v229, v27, v229 row_newbcast:5 row_mask:0xf bank_mask:0xf// 0000000066D0: 0BCBCAFA FF01551B
	v_mul_f32_dpp v230, v27, v230 row_newbcast:6 row_mask:0xf bank_mask:0xf// 0000000066D8: 0BCDCCFA FF01561B
	v_mul_f32_dpp v231, v27, v231 row_newbcast:7 row_mask:0xf bank_mask:0xf// 0000000066E0: 0BCFCEFA FF01571B
	v_mov_b32_e32 v4, v39                                      // 0000000066E8: 7E080327
	v_mov_b32_e32 v5, v4                                       // 0000000066EC: 7E0A0304
	v_pk_mul_f32 v[88:89], v[4:5], v[88:89]                    // 0000000066F0: D3B14058 1802B104
	v_pk_mul_f32 v[160:161], v[4:5], v[160:161]                // 0000000066F8: D3B140A0 18034104
	v_pk_mul_f32 v[90:91], v[4:5], v[90:91]                    // 000000006700: D3B1405A 1802B504
	v_pk_mul_f32 v[162:163], v[4:5], v[162:163]                // 000000006708: D3B140A2 18034504
	v_pk_mul_f32 v[124:125], v[4:5], v[124:125]                // 000000006710: D3B1407C 1802F904
	v_pk_mul_f32 v[196:197], v[4:5], v[196:197]                // 000000006718: D3B140C4 18038904
	v_pk_mul_f32 v[126:127], v[4:5], v[126:127]                // 000000006720: D3B1407E 1802FD04
	v_pk_mul_f32 v[198:199], v[4:5], v[198:199]                // 000000006728: D3B140C6 18038D04
	v_mov_b32_e32 v4, v40                                      // 000000006730: 7E080328
	v_mov_b32_e32 v5, v4                                       // 000000006734: 7E0A0304
	v_pk_mul_f32 v[92:93], v[4:5], v[92:93]                    // 000000006738: D3B1405C 1802B904
	v_pk_mul_f32 v[164:165], v[4:5], v[164:165]                // 000000006740: D3B140A4 18034904
	v_pk_mul_f32 v[94:95], v[4:5], v[94:95]                    // 000000006748: D3B1405E 1802BD04
	v_pk_mul_f32 v[166:167], v[4:5], v[166:167]                // 000000006750: D3B140A6 18034D04
	v_pk_mul_f32 v[128:129], v[4:5], v[128:129]                // 000000006758: D3B14080 18030104
	v_pk_mul_f32 v[200:201], v[4:5], v[200:201]                // 000000006760: D3B140C8 18039104
	v_pk_mul_f32 v[130:131], v[4:5], v[130:131]                // 000000006768: D3B14082 18030504
	v_pk_mul_f32 v[202:203], v[4:5], v[202:203]                // 000000006770: D3B140CA 18039504
	v_mov_b32_e32 v4, v41                                      // 000000006778: 7E080329
	v_mov_b32_e32 v5, v4                                       // 00000000677C: 7E0A0304
	v_pk_mul_f32 v[96:97], v[4:5], v[96:97]                    // 000000006780: D3B14060 1802C104
	v_pk_mul_f32 v[168:169], v[4:5], v[168:169]                // 000000006788: D3B140A8 18035104
	v_pk_mul_f32 v[98:99], v[4:5], v[98:99]                    // 000000006790: D3B14062 1802C504
	v_pk_mul_f32 v[170:171], v[4:5], v[170:171]                // 000000006798: D3B140AA 18035504
	v_pk_mul_f32 v[132:133], v[4:5], v[132:133]                // 0000000067A0: D3B14084 18030904
	v_pk_mul_f32 v[204:205], v[4:5], v[204:205]                // 0000000067A8: D3B140CC 18039904
	v_pk_mul_f32 v[134:135], v[4:5], v[134:135]                // 0000000067B0: D3B14086 18030D04
	v_pk_mul_f32 v[206:207], v[4:5], v[206:207]                // 0000000067B8: D3B140CE 18039D04
	v_mov_b32_e32 v4, v42                                      // 0000000067C0: 7E08032A
	v_mov_b32_e32 v5, v4                                       // 0000000067C4: 7E0A0304
	v_pk_mul_f32 v[100:101], v[4:5], v[100:101]                // 0000000067C8: D3B14064 1802C904
	v_pk_mul_f32 v[172:173], v[4:5], v[172:173]                // 0000000067D0: D3B140AC 18035904
	v_pk_mul_f32 v[102:103], v[4:5], v[102:103]                // 0000000067D8: D3B14066 1802CD04
	v_pk_mul_f32 v[174:175], v[4:5], v[174:175]                // 0000000067E0: D3B140AE 18035D04
	v_pk_mul_f32 v[136:137], v[4:5], v[136:137]                // 0000000067E8: D3B14088 18031104
	v_pk_mul_f32 v[208:209], v[4:5], v[208:209]                // 0000000067F0: D3B140D0 1803A104
	v_pk_mul_f32 v[138:139], v[4:5], v[138:139]                // 0000000067F8: D3B1408A 18031504
	v_pk_mul_f32 v[210:211], v[4:5], v[210:211]                // 000000006800: D3B140D2 1803A504
	v_mov_b32_e32 v4, v43                                      // 000000006808: 7E08032B
	v_mov_b32_e32 v5, v4                                       // 00000000680C: 7E0A0304
	v_pk_mul_f32 v[104:105], v[4:5], v[104:105]                // 000000006810: D3B14068 1802D104
	v_pk_mul_f32 v[176:177], v[4:5], v[176:177]                // 000000006818: D3B140B0 18036104
	v_pk_mul_f32 v[106:107], v[4:5], v[106:107]                // 000000006820: D3B1406A 1802D504
	v_pk_mul_f32 v[178:179], v[4:5], v[178:179]                // 000000006828: D3B140B2 18036504
	v_pk_mul_f32 v[140:141], v[4:5], v[140:141]                // 000000006830: D3B1408C 18031904
	v_pk_mul_f32 v[212:213], v[4:5], v[212:213]                // 000000006838: D3B140D4 1803A904
	v_pk_mul_f32 v[142:143], v[4:5], v[142:143]                // 000000006840: D3B1408E 18031D04
	v_pk_mul_f32 v[214:215], v[4:5], v[214:215]                // 000000006848: D3B140D6 1803AD04
	v_mov_b32_e32 v4, v44                                      // 000000006850: 7E08032C
	v_mov_b32_e32 v5, v4                                       // 000000006854: 7E0A0304
	v_pk_mul_f32 v[108:109], v[4:5], v[108:109]                // 000000006858: D3B1406C 1802D904
	v_pk_mul_f32 v[180:181], v[4:5], v[180:181]                // 000000006860: D3B140B4 18036904
	v_pk_mul_f32 v[110:111], v[4:5], v[110:111]                // 000000006868: D3B1406E 1802DD04
	v_pk_mul_f32 v[182:183], v[4:5], v[182:183]                // 000000006870: D3B140B6 18036D04
	v_pk_mul_f32 v[144:145], v[4:5], v[144:145]                // 000000006878: D3B14090 18032104
	v_pk_mul_f32 v[216:217], v[4:5], v[216:217]                // 000000006880: D3B140D8 1803B104
	v_pk_mul_f32 v[146:147], v[4:5], v[146:147]                // 000000006888: D3B14092 18032504
	v_pk_mul_f32 v[218:219], v[4:5], v[218:219]                // 000000006890: D3B140DA 1803B504
	v_mov_b32_e32 v4, v45                                      // 000000006898: 7E08032D
	v_mov_b32_e32 v5, v4                                       // 00000000689C: 7E0A0304
	v_pk_mul_f32 v[112:113], v[4:5], v[112:113]                // 0000000068A0: D3B14070 1802E104
	v_pk_mul_f32 v[184:185], v[4:5], v[184:185]                // 0000000068A8: D3B140B8 18037104
	v_pk_mul_f32 v[114:115], v[4:5], v[114:115]                // 0000000068B0: D3B14072 1802E504
	v_pk_mul_f32 v[186:187], v[4:5], v[186:187]                // 0000000068B8: D3B140BA 18037504
	v_pk_mul_f32 v[148:149], v[4:5], v[148:149]                // 0000000068C0: D3B14094 18032904
	v_pk_mul_f32 v[220:221], v[4:5], v[220:221]                // 0000000068C8: D3B140DC 1803B904
	v_pk_mul_f32 v[150:151], v[4:5], v[150:151]                // 0000000068D0: D3B14096 18032D04
	v_pk_mul_f32 v[222:223], v[4:5], v[222:223]                // 0000000068D8: D3B140DE 1803BD04
	v_mov_b32_e32 v4, v46                                      // 0000000068E0: 7E08032E
	v_mov_b32_e32 v5, v4                                       // 0000000068E4: 7E0A0304
	v_pk_mul_f32 v[116:117], v[4:5], v[116:117]                // 0000000068E8: D3B14074 1802E904
	v_pk_mul_f32 v[188:189], v[4:5], v[188:189]                // 0000000068F0: D3B140BC 18037904
	v_pk_mul_f32 v[118:119], v[4:5], v[118:119]                // 0000000068F8: D3B14076 1802ED04
	v_pk_mul_f32 v[190:191], v[4:5], v[190:191]                // 000000006900: D3B140BE 18037D04
	v_pk_mul_f32 v[152:153], v[4:5], v[152:153]                // 000000006908: D3B14098 18033104
	v_pk_mul_f32 v[224:225], v[4:5], v[224:225]                // 000000006910: D3B140E0 1803C104
	v_pk_mul_f32 v[154:155], v[4:5], v[154:155]                // 000000006918: D3B1409A 18033504
	v_pk_mul_f32 v[226:227], v[4:5], v[226:227]                // 000000006920: D3B140E2 1803C504
	v_mov_b32_e32 v4, v47                                      // 000000006928: 7E08032F
	v_mov_b32_e32 v5, v4                                       // 00000000692C: 7E0A0304
	v_pk_mul_f32 v[120:121], v[4:5], v[120:121]                // 000000006930: D3B14078 1802F104
	v_pk_mul_f32 v[192:193], v[4:5], v[192:193]                // 000000006938: D3B140C0 18038104
	v_pk_mul_f32 v[122:123], v[4:5], v[122:123]                // 000000006940: D3B1407A 1802F504
	v_pk_mul_f32 v[194:195], v[4:5], v[194:195]                // 000000006948: D3B140C2 18038504
	v_pk_mul_f32 v[156:157], v[4:5], v[156:157]                // 000000006950: D3B1409C 18033904
	v_pk_mul_f32 v[228:229], v[4:5], v[228:229]                // 000000006958: D3B140E4 1803C904
	v_pk_mul_f32 v[158:159], v[4:5], v[158:159]                // 000000006960: D3B1409E 18033D04
	v_pk_mul_f32 v[230:231], v[4:5], v[230:231]                // 000000006968: D3B140E6 1803CD04
	s_cmp_eq_u32 s88, 0                                        // 000000006970: BF068058
	s_cbranch_scc0 label_1A67                                  // 000000006974: BF840A89
	s_cmp_eq_u32 s89, 0                                        // 000000006978: BF068059
	s_cbranch_scc1 label_12B5                                  // 00000000697C: BF8502D5
	v_mov_b32_e32 v8, v1                                       // 000000006980: 7E100301
	v_mov_b32_e32 v9, v1                                       // 000000006984: 7E120301
	s_mov_b32 s60, s6                                          // 000000006988: BEBC0006
	s_mov_b32 s61, s6                                          // 00000000698C: BEBD0006
	v_pk_mul_f32 v[4:5], v[88:89], v[88:89]                    // 000000006990: D3B14004 1802B158
	v_pk_mul_f32 v[6:7], v[90:91], v[90:91]                    // 000000006998: D3B14006 1802B55A
	v_pk_fma_f32 v[4:5], v[4:5], s[78:79], v[8:9]              // 0000000069A0: D3B04004 1C209D04
	v_pk_fma_f32 v[6:7], v[6:7], s[78:79], v[8:9]              // 0000000069A8: D3B04006 1C209D06
	v_pk_mul_f32 v[4:5], v[4:5], v[88:89]                      // 0000000069B0: D3B14004 1802B104
	v_pk_mul_f32 v[6:7], v[6:7], v[90:91]                      // 0000000069B8: D3B14006 1802B506
	v_pk_mul_f32 v[4:5], v[4:5], s[60:61]                      // 0000000069C0: D3B14004 18007904
	v_pk_mul_f32 v[6:7], v[6:7], s[60:61]                      // 0000000069C8: D3B14006 18007906
	v_exp_f32_e32 v4, v4                                       // 0000000069D0: 7E084104
	v_exp_f32_e32 v5, v5                                       // 0000000069D4: 7E0A4105
	v_exp_f32_e32 v6, v6                                       // 0000000069D8: 7E0C4106
	v_exp_f32_e32 v7, v7                                       // 0000000069DC: 7E0E4107
	v_add_f32_e64 v4, v4, 1.0                                  // 0000000069E0: D1010004 0001E504
	v_add_f32_e64 v5, v5, 1.0                                  // 0000000069E8: D1010005 0001E505
	v_add_f32_e64 v6, v6, 1.0                                  // 0000000069F0: D1010006 0001E506
	v_add_f32_e64 v7, v7, 1.0                                  // 0000000069F8: D1010007 0001E507
	v_rcp_f32_e32 v4, v4                                       // 000000006A00: 7E084504
	v_rcp_f32_e32 v5, v5                                       // 000000006A04: 7E0A4505
	v_rcp_f32_e32 v6, v6                                       // 000000006A08: 7E0C4506
	v_rcp_f32_e32 v7, v7                                       // 000000006A0C: 7E0E4507
	v_mul_f32_e32 v88, v88, v4                                 // 000000006A10: 0AB00958
	v_mul_f32_e32 v89, v89, v5                                 // 000000006A14: 0AB20B59
	v_mul_f32_e32 v90, v90, v6                                 // 000000006A18: 0AB40D5A
	v_mul_f32_e32 v91, v91, v7                                 // 000000006A1C: 0AB60F5B
	v_mul_f32_e32 v88, v88, v160                               // 000000006A20: 0AB14158
	v_mul_f32_e32 v89, v89, v161                               // 000000006A24: 0AB34359
	v_mul_f32_e32 v90, v90, v162                               // 000000006A28: 0AB5455A
	v_mul_f32_e32 v91, v91, v163                               // 000000006A2C: 0AB7475B
	v_pk_mul_f32 v[4:5], v[92:93], v[92:93]                    // 000000006A30: D3B14004 1802B95C
	v_pk_mul_f32 v[6:7], v[94:95], v[94:95]                    // 000000006A38: D3B14006 1802BD5E
	v_pk_fma_f32 v[4:5], v[4:5], s[78:79], v[8:9]              // 000000006A40: D3B04004 1C209D04
	v_pk_fma_f32 v[6:7], v[6:7], s[78:79], v[8:9]              // 000000006A48: D3B04006 1C209D06
	v_pk_mul_f32 v[4:5], v[4:5], v[92:93]                      // 000000006A50: D3B14004 1802B904
	v_pk_mul_f32 v[6:7], v[6:7], v[94:95]                      // 000000006A58: D3B14006 1802BD06
	v_pk_mul_f32 v[4:5], v[4:5], s[60:61]                      // 000000006A60: D3B14004 18007904
	v_pk_mul_f32 v[6:7], v[6:7], s[60:61]                      // 000000006A68: D3B14006 18007906
	v_exp_f32_e32 v4, v4                                       // 000000006A70: 7E084104
	v_exp_f32_e32 v5, v5                                       // 000000006A74: 7E0A4105
	v_exp_f32_e32 v6, v6                                       // 000000006A78: 7E0C4106
	v_exp_f32_e32 v7, v7                                       // 000000006A7C: 7E0E4107
	v_add_f32_e64 v4, v4, 1.0                                  // 000000006A80: D1010004 0001E504
	v_add_f32_e64 v5, v5, 1.0                                  // 000000006A88: D1010005 0001E505
	v_add_f32_e64 v6, v6, 1.0                                  // 000000006A90: D1010006 0001E506
	v_add_f32_e64 v7, v7, 1.0                                  // 000000006A98: D1010007 0001E507
	v_rcp_f32_e32 v4, v4                                       // 000000006AA0: 7E084504
	v_rcp_f32_e32 v5, v5                                       // 000000006AA4: 7E0A4505
	v_rcp_f32_e32 v6, v6                                       // 000000006AA8: 7E0C4506
	v_rcp_f32_e32 v7, v7                                       // 000000006AAC: 7E0E4507
	v_mul_f32_e32 v92, v92, v4                                 // 000000006AB0: 0AB8095C
	v_mul_f32_e32 v93, v93, v5                                 // 000000006AB4: 0ABA0B5D
	v_mul_f32_e32 v94, v94, v6                                 // 000000006AB8: 0ABC0D5E
	v_mul_f32_e32 v95, v95, v7                                 // 000000006ABC: 0ABE0F5F
	v_mul_f32_e32 v92, v92, v164                               // 000000006AC0: 0AB9495C
	v_mul_f32_e32 v93, v93, v165                               // 000000006AC4: 0ABB4B5D
	v_mul_f32_e32 v94, v94, v166                               // 000000006AC8: 0ABD4D5E
	v_mul_f32_e32 v95, v95, v167                               // 000000006ACC: 0ABF4F5F
	v_pk_mul_f32 v[4:5], v[96:97], v[96:97]                    // 000000006AD0: D3B14004 1802C160
	v_pk_mul_f32 v[6:7], v[98:99], v[98:99]                    // 000000006AD8: D3B14006 1802C562
	v_pk_fma_f32 v[4:5], v[4:5], s[78:79], v[8:9]              // 000000006AE0: D3B04004 1C209D04
	v_pk_fma_f32 v[6:7], v[6:7], s[78:79], v[8:9]              // 000000006AE8: D3B04006 1C209D06
	v_pk_mul_f32 v[4:5], v[4:5], v[96:97]                      // 000000006AF0: D3B14004 1802C104
	v_pk_mul_f32 v[6:7], v[6:7], v[98:99]                      // 000000006AF8: D3B14006 1802C506
	v_pk_mul_f32 v[4:5], v[4:5], s[60:61]                      // 000000006B00: D3B14004 18007904
	v_pk_mul_f32 v[6:7], v[6:7], s[60:61]                      // 000000006B08: D3B14006 18007906
	v_exp_f32_e32 v4, v4                                       // 000000006B10: 7E084104
	v_exp_f32_e32 v5, v5                                       // 000000006B14: 7E0A4105
	v_exp_f32_e32 v6, v6                                       // 000000006B18: 7E0C4106
	v_exp_f32_e32 v7, v7                                       // 000000006B1C: 7E0E4107
	v_add_f32_e64 v4, v4, 1.0                                  // 000000006B20: D1010004 0001E504
	v_add_f32_e64 v5, v5, 1.0                                  // 000000006B28: D1010005 0001E505
	v_add_f32_e64 v6, v6, 1.0                                  // 000000006B30: D1010006 0001E506
	v_add_f32_e64 v7, v7, 1.0                                  // 000000006B38: D1010007 0001E507
	v_rcp_f32_e32 v4, v4                                       // 000000006B40: 7E084504
	v_rcp_f32_e32 v5, v5                                       // 000000006B44: 7E0A4505
	v_rcp_f32_e32 v6, v6                                       // 000000006B48: 7E0C4506
	v_rcp_f32_e32 v7, v7                                       // 000000006B4C: 7E0E4507
	v_mul_f32_e32 v96, v96, v4                                 // 000000006B50: 0AC00960
	v_mul_f32_e32 v97, v97, v5                                 // 000000006B54: 0AC20B61
	v_mul_f32_e32 v98, v98, v6                                 // 000000006B58: 0AC40D62
	v_mul_f32_e32 v99, v99, v7                                 // 000000006B5C: 0AC60F63
	v_mul_f32_e32 v96, v96, v168                               // 000000006B60: 0AC15160
	v_mul_f32_e32 v97, v97, v169                               // 000000006B64: 0AC35361
	v_mul_f32_e32 v98, v98, v170                               // 000000006B68: 0AC55562
	v_mul_f32_e32 v99, v99, v171                               // 000000006B6C: 0AC75763
	v_pk_mul_f32 v[4:5], v[100:101], v[100:101]                // 000000006B70: D3B14004 1802C964
	v_pk_mul_f32 v[6:7], v[102:103], v[102:103]                // 000000006B78: D3B14006 1802CD66
	v_pk_fma_f32 v[4:5], v[4:5], s[78:79], v[8:9]              // 000000006B80: D3B04004 1C209D04
	v_pk_fma_f32 v[6:7], v[6:7], s[78:79], v[8:9]              // 000000006B88: D3B04006 1C209D06
	v_pk_mul_f32 v[4:5], v[4:5], v[100:101]                    // 000000006B90: D3B14004 1802C904
	v_pk_mul_f32 v[6:7], v[6:7], v[102:103]                    // 000000006B98: D3B14006 1802CD06
	v_pk_mul_f32 v[4:5], v[4:5], s[60:61]                      // 000000006BA0: D3B14004 18007904
	v_pk_mul_f32 v[6:7], v[6:7], s[60:61]                      // 000000006BA8: D3B14006 18007906
	v_exp_f32_e32 v4, v4                                       // 000000006BB0: 7E084104
	v_exp_f32_e32 v5, v5                                       // 000000006BB4: 7E0A4105
	v_exp_f32_e32 v6, v6                                       // 000000006BB8: 7E0C4106
	v_exp_f32_e32 v7, v7                                       // 000000006BBC: 7E0E4107
	v_add_f32_e64 v4, v4, 1.0                                  // 000000006BC0: D1010004 0001E504
	v_add_f32_e64 v5, v5, 1.0                                  // 000000006BC8: D1010005 0001E505
	v_add_f32_e64 v6, v6, 1.0                                  // 000000006BD0: D1010006 0001E506
	v_add_f32_e64 v7, v7, 1.0                                  // 000000006BD8: D1010007 0001E507
	v_rcp_f32_e32 v4, v4                                       // 000000006BE0: 7E084504
	v_rcp_f32_e32 v5, v5                                       // 000000006BE4: 7E0A4505
	v_rcp_f32_e32 v6, v6                                       // 000000006BE8: 7E0C4506
	v_rcp_f32_e32 v7, v7                                       // 000000006BEC: 7E0E4507
	v_mul_f32_e32 v100, v100, v4                               // 000000006BF0: 0AC80964
	v_mul_f32_e32 v101, v101, v5                               // 000000006BF4: 0ACA0B65
	v_mul_f32_e32 v102, v102, v6                               // 000000006BF8: 0ACC0D66
	v_mul_f32_e32 v103, v103, v7                               // 000000006BFC: 0ACE0F67
	v_mul_f32_e32 v100, v100, v172                             // 000000006C00: 0AC95964
	v_mul_f32_e32 v101, v101, v173                             // 000000006C04: 0ACB5B65
	v_mul_f32_e32 v102, v102, v174                             // 000000006C08: 0ACD5D66
	v_mul_f32_e32 v103, v103, v175                             // 000000006C0C: 0ACF5F67
	v_pk_mul_f32 v[4:5], v[104:105], v[104:105]                // 000000006C10: D3B14004 1802D168
	v_pk_mul_f32 v[6:7], v[106:107], v[106:107]                // 000000006C18: D3B14006 1802D56A
	v_pk_fma_f32 v[4:5], v[4:5], s[78:79], v[8:9]              // 000000006C20: D3B04004 1C209D04
	v_pk_fma_f32 v[6:7], v[6:7], s[78:79], v[8:9]              // 000000006C28: D3B04006 1C209D06
	v_pk_mul_f32 v[4:5], v[4:5], v[104:105]                    // 000000006C30: D3B14004 1802D104
	v_pk_mul_f32 v[6:7], v[6:7], v[106:107]                    // 000000006C38: D3B14006 1802D506
	v_pk_mul_f32 v[4:5], v[4:5], s[60:61]                      // 000000006C40: D3B14004 18007904
	v_pk_mul_f32 v[6:7], v[6:7], s[60:61]                      // 000000006C48: D3B14006 18007906
	v_exp_f32_e32 v4, v4                                       // 000000006C50: 7E084104
	v_exp_f32_e32 v5, v5                                       // 000000006C54: 7E0A4105
	v_exp_f32_e32 v6, v6                                       // 000000006C58: 7E0C4106
	v_exp_f32_e32 v7, v7                                       // 000000006C5C: 7E0E4107
	v_add_f32_e64 v4, v4, 1.0                                  // 000000006C60: D1010004 0001E504
	v_add_f32_e64 v5, v5, 1.0                                  // 000000006C68: D1010005 0001E505
	v_add_f32_e64 v6, v6, 1.0                                  // 000000006C70: D1010006 0001E506
	v_add_f32_e64 v7, v7, 1.0                                  // 000000006C78: D1010007 0001E507
	v_rcp_f32_e32 v4, v4                                       // 000000006C80: 7E084504
	v_rcp_f32_e32 v5, v5                                       // 000000006C84: 7E0A4505
	v_rcp_f32_e32 v6, v6                                       // 000000006C88: 7E0C4506
	v_rcp_f32_e32 v7, v7                                       // 000000006C8C: 7E0E4507
	v_mul_f32_e32 v104, v104, v4                               // 000000006C90: 0AD00968
	v_mul_f32_e32 v105, v105, v5                               // 000000006C94: 0AD20B69
	v_mul_f32_e32 v106, v106, v6                               // 000000006C98: 0AD40D6A
	v_mul_f32_e32 v107, v107, v7                               // 000000006C9C: 0AD60F6B
	v_mul_f32_e32 v104, v104, v176                             // 000000006CA0: 0AD16168
	v_mul_f32_e32 v105, v105, v177                             // 000000006CA4: 0AD36369
	v_mul_f32_e32 v106, v106, v178                             // 000000006CA8: 0AD5656A
	v_mul_f32_e32 v107, v107, v179                             // 000000006CAC: 0AD7676B
	v_pk_mul_f32 v[4:5], v[108:109], v[108:109]                // 000000006CB0: D3B14004 1802D96C
	v_pk_mul_f32 v[6:7], v[110:111], v[110:111]                // 000000006CB8: D3B14006 1802DD6E
	v_pk_fma_f32 v[4:5], v[4:5], s[78:79], v[8:9]              // 000000006CC0: D3B04004 1C209D04
	v_pk_fma_f32 v[6:7], v[6:7], s[78:79], v[8:9]              // 000000006CC8: D3B04006 1C209D06
	v_pk_mul_f32 v[4:5], v[4:5], v[108:109]                    // 000000006CD0: D3B14004 1802D904
	v_pk_mul_f32 v[6:7], v[6:7], v[110:111]                    // 000000006CD8: D3B14006 1802DD06
	v_pk_mul_f32 v[4:5], v[4:5], s[60:61]                      // 000000006CE0: D3B14004 18007904
	v_pk_mul_f32 v[6:7], v[6:7], s[60:61]                      // 000000006CE8: D3B14006 18007906
	v_exp_f32_e32 v4, v4                                       // 000000006CF0: 7E084104
	v_exp_f32_e32 v5, v5                                       // 000000006CF4: 7E0A4105
	v_exp_f32_e32 v6, v6                                       // 000000006CF8: 7E0C4106
	v_exp_f32_e32 v7, v7                                       // 000000006CFC: 7E0E4107
	v_add_f32_e64 v4, v4, 1.0                                  // 000000006D00: D1010004 0001E504
	v_add_f32_e64 v5, v5, 1.0                                  // 000000006D08: D1010005 0001E505
	v_add_f32_e64 v6, v6, 1.0                                  // 000000006D10: D1010006 0001E506
	v_add_f32_e64 v7, v7, 1.0                                  // 000000006D18: D1010007 0001E507
	v_rcp_f32_e32 v4, v4                                       // 000000006D20: 7E084504
	v_rcp_f32_e32 v5, v5                                       // 000000006D24: 7E0A4505
	v_rcp_f32_e32 v6, v6                                       // 000000006D28: 7E0C4506
	v_rcp_f32_e32 v7, v7                                       // 000000006D2C: 7E0E4507
	v_mul_f32_e32 v108, v108, v4                               // 000000006D30: 0AD8096C
	v_mul_f32_e32 v109, v109, v5                               // 000000006D34: 0ADA0B6D
	v_mul_f32_e32 v110, v110, v6                               // 000000006D38: 0ADC0D6E
	v_mul_f32_e32 v111, v111, v7                               // 000000006D3C: 0ADE0F6F
	v_mul_f32_e32 v108, v108, v180                             // 000000006D40: 0AD9696C
	v_mul_f32_e32 v109, v109, v181                             // 000000006D44: 0ADB6B6D
	v_mul_f32_e32 v110, v110, v182                             // 000000006D48: 0ADD6D6E
	v_mul_f32_e32 v111, v111, v183                             // 000000006D4C: 0ADF6F6F
	v_pk_mul_f32 v[4:5], v[112:113], v[112:113]                // 000000006D50: D3B14004 1802E170
	v_pk_mul_f32 v[6:7], v[114:115], v[114:115]                // 000000006D58: D3B14006 1802E572
	v_pk_fma_f32 v[4:5], v[4:5], s[78:79], v[8:9]              // 000000006D60: D3B04004 1C209D04
	v_pk_fma_f32 v[6:7], v[6:7], s[78:79], v[8:9]              // 000000006D68: D3B04006 1C209D06
	v_pk_mul_f32 v[4:5], v[4:5], v[112:113]                    // 000000006D70: D3B14004 1802E104
	v_pk_mul_f32 v[6:7], v[6:7], v[114:115]                    // 000000006D78: D3B14006 1802E506
	v_pk_mul_f32 v[4:5], v[4:5], s[60:61]                      // 000000006D80: D3B14004 18007904
	v_pk_mul_f32 v[6:7], v[6:7], s[60:61]                      // 000000006D88: D3B14006 18007906
	v_exp_f32_e32 v4, v4                                       // 000000006D90: 7E084104
	v_exp_f32_e32 v5, v5                                       // 000000006D94: 7E0A4105
	v_exp_f32_e32 v6, v6                                       // 000000006D98: 7E0C4106
	v_exp_f32_e32 v7, v7                                       // 000000006D9C: 7E0E4107
	v_add_f32_e64 v4, v4, 1.0                                  // 000000006DA0: D1010004 0001E504
	v_add_f32_e64 v5, v5, 1.0                                  // 000000006DA8: D1010005 0001E505
	v_add_f32_e64 v6, v6, 1.0                                  // 000000006DB0: D1010006 0001E506
	v_add_f32_e64 v7, v7, 1.0                                  // 000000006DB8: D1010007 0001E507
	v_rcp_f32_e32 v4, v4                                       // 000000006DC0: 7E084504
	v_rcp_f32_e32 v5, v5                                       // 000000006DC4: 7E0A4505
	v_rcp_f32_e32 v6, v6                                       // 000000006DC8: 7E0C4506
	v_rcp_f32_e32 v7, v7                                       // 000000006DCC: 7E0E4507
	v_mul_f32_e32 v112, v112, v4                               // 000000006DD0: 0AE00970
	v_mul_f32_e32 v113, v113, v5                               // 000000006DD4: 0AE20B71
	v_mul_f32_e32 v114, v114, v6                               // 000000006DD8: 0AE40D72
	v_mul_f32_e32 v115, v115, v7                               // 000000006DDC: 0AE60F73
	v_mul_f32_e32 v112, v112, v184                             // 000000006DE0: 0AE17170
	v_mul_f32_e32 v113, v113, v185                             // 000000006DE4: 0AE37371
	v_mul_f32_e32 v114, v114, v186                             // 000000006DE8: 0AE57572
	v_mul_f32_e32 v115, v115, v187                             // 000000006DEC: 0AE77773
	v_pk_mul_f32 v[4:5], v[116:117], v[116:117]                // 000000006DF0: D3B14004 1802E974
	v_pk_mul_f32 v[6:7], v[118:119], v[118:119]                // 000000006DF8: D3B14006 1802ED76
	v_pk_fma_f32 v[4:5], v[4:5], s[78:79], v[8:9]              // 000000006E00: D3B04004 1C209D04
	v_pk_fma_f32 v[6:7], v[6:7], s[78:79], v[8:9]              // 000000006E08: D3B04006 1C209D06
	v_pk_mul_f32 v[4:5], v[4:5], v[116:117]                    // 000000006E10: D3B14004 1802E904
	v_pk_mul_f32 v[6:7], v[6:7], v[118:119]                    // 000000006E18: D3B14006 1802ED06
	v_pk_mul_f32 v[4:5], v[4:5], s[60:61]                      // 000000006E20: D3B14004 18007904
	v_pk_mul_f32 v[6:7], v[6:7], s[60:61]                      // 000000006E28: D3B14006 18007906
	v_exp_f32_e32 v4, v4                                       // 000000006E30: 7E084104
	v_exp_f32_e32 v5, v5                                       // 000000006E34: 7E0A4105
	v_exp_f32_e32 v6, v6                                       // 000000006E38: 7E0C4106
	v_exp_f32_e32 v7, v7                                       // 000000006E3C: 7E0E4107
	v_add_f32_e64 v4, v4, 1.0                                  // 000000006E40: D1010004 0001E504
	v_add_f32_e64 v5, v5, 1.0                                  // 000000006E48: D1010005 0001E505
	v_add_f32_e64 v6, v6, 1.0                                  // 000000006E50: D1010006 0001E506
	v_add_f32_e64 v7, v7, 1.0                                  // 000000006E58: D1010007 0001E507
	v_rcp_f32_e32 v4, v4                                       // 000000006E60: 7E084504
	v_rcp_f32_e32 v5, v5                                       // 000000006E64: 7E0A4505
	v_rcp_f32_e32 v6, v6                                       // 000000006E68: 7E0C4506
	v_rcp_f32_e32 v7, v7                                       // 000000006E6C: 7E0E4507
	v_mul_f32_e32 v116, v116, v4                               // 000000006E70: 0AE80974
	v_mul_f32_e32 v117, v117, v5                               // 000000006E74: 0AEA0B75
	v_mul_f32_e32 v118, v118, v6                               // 000000006E78: 0AEC0D76
	v_mul_f32_e32 v119, v119, v7                               // 000000006E7C: 0AEE0F77
	v_mul_f32_e32 v116, v116, v188                             // 000000006E80: 0AE97974
	v_mul_f32_e32 v117, v117, v189                             // 000000006E84: 0AEB7B75
	v_mul_f32_e32 v118, v118, v190                             // 000000006E88: 0AED7D76
	v_mul_f32_e32 v119, v119, v191                             // 000000006E8C: 0AEF7F77
	v_pk_mul_f32 v[4:5], v[120:121], v[120:121]                // 000000006E90: D3B14004 1802F178
	v_pk_mul_f32 v[6:7], v[122:123], v[122:123]                // 000000006E98: D3B14006 1802F57A
	v_pk_fma_f32 v[4:5], v[4:5], s[78:79], v[8:9]              // 000000006EA0: D3B04004 1C209D04
	v_pk_fma_f32 v[6:7], v[6:7], s[78:79], v[8:9]              // 000000006EA8: D3B04006 1C209D06
	v_pk_mul_f32 v[4:5], v[4:5], v[120:121]                    // 000000006EB0: D3B14004 1802F104
	v_pk_mul_f32 v[6:7], v[6:7], v[122:123]                    // 000000006EB8: D3B14006 1802F506
	v_pk_mul_f32 v[4:5], v[4:5], s[60:61]                      // 000000006EC0: D3B14004 18007904
	v_pk_mul_f32 v[6:7], v[6:7], s[60:61]                      // 000000006EC8: D3B14006 18007906
	v_exp_f32_e32 v4, v4                                       // 000000006ED0: 7E084104
	v_exp_f32_e32 v5, v5                                       // 000000006ED4: 7E0A4105
	v_exp_f32_e32 v6, v6                                       // 000000006ED8: 7E0C4106
	v_exp_f32_e32 v7, v7                                       // 000000006EDC: 7E0E4107
	v_add_f32_e64 v4, v4, 1.0                                  // 000000006EE0: D1010004 0001E504
	v_add_f32_e64 v5, v5, 1.0                                  // 000000006EE8: D1010005 0001E505
	v_add_f32_e64 v6, v6, 1.0                                  // 000000006EF0: D1010006 0001E506
	v_add_f32_e64 v7, v7, 1.0                                  // 000000006EF8: D1010007 0001E507
	v_rcp_f32_e32 v4, v4                                       // 000000006F00: 7E084504
	v_rcp_f32_e32 v5, v5                                       // 000000006F04: 7E0A4505
	v_rcp_f32_e32 v6, v6                                       // 000000006F08: 7E0C4506
	v_rcp_f32_e32 v7, v7                                       // 000000006F0C: 7E0E4507
	v_mul_f32_e32 v120, v120, v4                               // 000000006F10: 0AF00978
	v_mul_f32_e32 v121, v121, v5                               // 000000006F14: 0AF20B79
	v_mul_f32_e32 v122, v122, v6                               // 000000006F18: 0AF40D7A
	v_mul_f32_e32 v123, v123, v7                               // 000000006F1C: 0AF60F7B
	v_mul_f32_e32 v120, v120, v192                             // 000000006F20: 0AF18178
	v_mul_f32_e32 v121, v121, v193                             // 000000006F24: 0AF38379
	v_mul_f32_e32 v122, v122, v194                             // 000000006F28: 0AF5857A
	v_mul_f32_e32 v123, v123, v195                             // 000000006F2C: 0AF7877B
	v_pk_mul_f32 v[4:5], v[124:125], v[124:125]                // 000000006F30: D3B14004 1802F97C
	v_pk_mul_f32 v[6:7], v[126:127], v[126:127]                // 000000006F38: D3B14006 1802FD7E
	v_pk_fma_f32 v[4:5], v[4:5], s[78:79], v[8:9]              // 000000006F40: D3B04004 1C209D04
	v_pk_fma_f32 v[6:7], v[6:7], s[78:79], v[8:9]              // 000000006F48: D3B04006 1C209D06
	v_pk_mul_f32 v[4:5], v[4:5], v[124:125]                    // 000000006F50: D3B14004 1802F904
	v_pk_mul_f32 v[6:7], v[6:7], v[126:127]                    // 000000006F58: D3B14006 1802FD06
	v_pk_mul_f32 v[4:5], v[4:5], s[60:61]                      // 000000006F60: D3B14004 18007904
	v_pk_mul_f32 v[6:7], v[6:7], s[60:61]                      // 000000006F68: D3B14006 18007906
	v_exp_f32_e32 v4, v4                                       // 000000006F70: 7E084104
	v_exp_f32_e32 v5, v5                                       // 000000006F74: 7E0A4105
	v_exp_f32_e32 v6, v6                                       // 000000006F78: 7E0C4106
	v_exp_f32_e32 v7, v7                                       // 000000006F7C: 7E0E4107
	v_add_f32_e64 v4, v4, 1.0                                  // 000000006F80: D1010004 0001E504
	v_add_f32_e64 v5, v5, 1.0                                  // 000000006F88: D1010005 0001E505
	v_add_f32_e64 v6, v6, 1.0                                  // 000000006F90: D1010006 0001E506
	v_add_f32_e64 v7, v7, 1.0                                  // 000000006F98: D1010007 0001E507
	v_rcp_f32_e32 v4, v4                                       // 000000006FA0: 7E084504
	v_rcp_f32_e32 v5, v5                                       // 000000006FA4: 7E0A4505
	v_rcp_f32_e32 v6, v6                                       // 000000006FA8: 7E0C4506
	v_rcp_f32_e32 v7, v7                                       // 000000006FAC: 7E0E4507
	v_mul_f32_e32 v124, v124, v4                               // 000000006FB0: 0AF8097C
	v_mul_f32_e32 v125, v125, v5                               // 000000006FB4: 0AFA0B7D
	v_mul_f32_e32 v126, v126, v6                               // 000000006FB8: 0AFC0D7E
	v_mul_f32_e32 v127, v127, v7                               // 000000006FBC: 0AFE0F7F
	v_mul_f32_e32 v124, v124, v196                             // 000000006FC0: 0AF9897C
	v_mul_f32_e32 v125, v125, v197                             // 000000006FC4: 0AFB8B7D
	v_mul_f32_e32 v126, v126, v198                             // 000000006FC8: 0AFD8D7E
	v_mul_f32_e32 v127, v127, v199                             // 000000006FCC: 0AFF8F7F
	v_pk_mul_f32 v[4:5], v[128:129], v[128:129]                // 000000006FD0: D3B14004 18030180
	v_pk_mul_f32 v[6:7], v[130:131], v[130:131]                // 000000006FD8: D3B14006 18030582
	v_pk_fma_f32 v[4:5], v[4:5], s[78:79], v[8:9]              // 000000006FE0: D3B04004 1C209D04
	v_pk_fma_f32 v[6:7], v[6:7], s[78:79], v[8:9]              // 000000006FE8: D3B04006 1C209D06
	v_pk_mul_f32 v[4:5], v[4:5], v[128:129]                    // 000000006FF0: D3B14004 18030104
	v_pk_mul_f32 v[6:7], v[6:7], v[130:131]                    // 000000006FF8: D3B14006 18030506
	v_pk_mul_f32 v[4:5], v[4:5], s[60:61]                      // 000000007000: D3B14004 18007904
	v_pk_mul_f32 v[6:7], v[6:7], s[60:61]                      // 000000007008: D3B14006 18007906
	v_exp_f32_e32 v4, v4                                       // 000000007010: 7E084104
	v_exp_f32_e32 v5, v5                                       // 000000007014: 7E0A4105
	v_exp_f32_e32 v6, v6                                       // 000000007018: 7E0C4106
	v_exp_f32_e32 v7, v7                                       // 00000000701C: 7E0E4107
	v_add_f32_e64 v4, v4, 1.0                                  // 000000007020: D1010004 0001E504
	v_add_f32_e64 v5, v5, 1.0                                  // 000000007028: D1010005 0001E505
	v_add_f32_e64 v6, v6, 1.0                                  // 000000007030: D1010006 0001E506
	v_add_f32_e64 v7, v7, 1.0                                  // 000000007038: D1010007 0001E507
	v_rcp_f32_e32 v4, v4                                       // 000000007040: 7E084504
	v_rcp_f32_e32 v5, v5                                       // 000000007044: 7E0A4505
	v_rcp_f32_e32 v6, v6                                       // 000000007048: 7E0C4506
	v_rcp_f32_e32 v7, v7                                       // 00000000704C: 7E0E4507
	v_mul_f32_e32 v128, v128, v4                               // 000000007050: 0B000980
	v_mul_f32_e32 v129, v129, v5                               // 000000007054: 0B020B81
	v_mul_f32_e32 v130, v130, v6                               // 000000007058: 0B040D82
	v_mul_f32_e32 v131, v131, v7                               // 00000000705C: 0B060F83
	v_mul_f32_e32 v128, v128, v200                             // 000000007060: 0B019180
	v_mul_f32_e32 v129, v129, v201                             // 000000007064: 0B039381
	v_mul_f32_e32 v130, v130, v202                             // 000000007068: 0B059582
	v_mul_f32_e32 v131, v131, v203                             // 00000000706C: 0B079783
	v_pk_mul_f32 v[4:5], v[132:133], v[132:133]                // 000000007070: D3B14004 18030984
	v_pk_mul_f32 v[6:7], v[134:135], v[134:135]                // 000000007078: D3B14006 18030D86
	v_pk_fma_f32 v[4:5], v[4:5], s[78:79], v[8:9]              // 000000007080: D3B04004 1C209D04
	v_pk_fma_f32 v[6:7], v[6:7], s[78:79], v[8:9]              // 000000007088: D3B04006 1C209D06
	v_pk_mul_f32 v[4:5], v[4:5], v[132:133]                    // 000000007090: D3B14004 18030904
	v_pk_mul_f32 v[6:7], v[6:7], v[134:135]                    // 000000007098: D3B14006 18030D06
	v_pk_mul_f32 v[4:5], v[4:5], s[60:61]                      // 0000000070A0: D3B14004 18007904
	v_pk_mul_f32 v[6:7], v[6:7], s[60:61]                      // 0000000070A8: D3B14006 18007906
	v_exp_f32_e32 v4, v4                                       // 0000000070B0: 7E084104
	v_exp_f32_e32 v5, v5                                       // 0000000070B4: 7E0A4105
	v_exp_f32_e32 v6, v6                                       // 0000000070B8: 7E0C4106
	v_exp_f32_e32 v7, v7                                       // 0000000070BC: 7E0E4107
	v_add_f32_e64 v4, v4, 1.0                                  // 0000000070C0: D1010004 0001E504
	v_add_f32_e64 v5, v5, 1.0                                  // 0000000070C8: D1010005 0001E505
	v_add_f32_e64 v6, v6, 1.0                                  // 0000000070D0: D1010006 0001E506
	v_add_f32_e64 v7, v7, 1.0                                  // 0000000070D8: D1010007 0001E507
	v_rcp_f32_e32 v4, v4                                       // 0000000070E0: 7E084504
	v_rcp_f32_e32 v5, v5                                       // 0000000070E4: 7E0A4505
	v_rcp_f32_e32 v6, v6                                       // 0000000070E8: 7E0C4506
	v_rcp_f32_e32 v7, v7                                       // 0000000070EC: 7E0E4507
	v_mul_f32_e32 v132, v132, v4                               // 0000000070F0: 0B080984
	v_mul_f32_e32 v133, v133, v5                               // 0000000070F4: 0B0A0B85
	v_mul_f32_e32 v134, v134, v6                               // 0000000070F8: 0B0C0D86
	v_mul_f32_e32 v135, v135, v7                               // 0000000070FC: 0B0E0F87
	v_mul_f32_e32 v132, v132, v204                             // 000000007100: 0B099984
	v_mul_f32_e32 v133, v133, v205                             // 000000007104: 0B0B9B85
	v_mul_f32_e32 v134, v134, v206                             // 000000007108: 0B0D9D86
	v_mul_f32_e32 v135, v135, v207                             // 00000000710C: 0B0F9F87
	v_pk_mul_f32 v[4:5], v[136:137], v[136:137]                // 000000007110: D3B14004 18031188
	v_pk_mul_f32 v[6:7], v[138:139], v[138:139]                // 000000007118: D3B14006 1803158A
	v_pk_fma_f32 v[4:5], v[4:5], s[78:79], v[8:9]              // 000000007120: D3B04004 1C209D04
	v_pk_fma_f32 v[6:7], v[6:7], s[78:79], v[8:9]              // 000000007128: D3B04006 1C209D06
	v_pk_mul_f32 v[4:5], v[4:5], v[136:137]                    // 000000007130: D3B14004 18031104
	v_pk_mul_f32 v[6:7], v[6:7], v[138:139]                    // 000000007138: D3B14006 18031506
	v_pk_mul_f32 v[4:5], v[4:5], s[60:61]                      // 000000007140: D3B14004 18007904
	v_pk_mul_f32 v[6:7], v[6:7], s[60:61]                      // 000000007148: D3B14006 18007906
	v_exp_f32_e32 v4, v4                                       // 000000007150: 7E084104
	v_exp_f32_e32 v5, v5                                       // 000000007154: 7E0A4105
	v_exp_f32_e32 v6, v6                                       // 000000007158: 7E0C4106
	v_exp_f32_e32 v7, v7                                       // 00000000715C: 7E0E4107
	v_add_f32_e64 v4, v4, 1.0                                  // 000000007160: D1010004 0001E504
	v_add_f32_e64 v5, v5, 1.0                                  // 000000007168: D1010005 0001E505
	v_add_f32_e64 v6, v6, 1.0                                  // 000000007170: D1010006 0001E506
	v_add_f32_e64 v7, v7, 1.0                                  // 000000007178: D1010007 0001E507
	v_rcp_f32_e32 v4, v4                                       // 000000007180: 7E084504
	v_rcp_f32_e32 v5, v5                                       // 000000007184: 7E0A4505
	v_rcp_f32_e32 v6, v6                                       // 000000007188: 7E0C4506
	v_rcp_f32_e32 v7, v7                                       // 00000000718C: 7E0E4507
	v_mul_f32_e32 v136, v136, v4                               // 000000007190: 0B100988
	v_mul_f32_e32 v137, v137, v5                               // 000000007194: 0B120B89
	v_mul_f32_e32 v138, v138, v6                               // 000000007198: 0B140D8A
	v_mul_f32_e32 v139, v139, v7                               // 00000000719C: 0B160F8B
	v_mul_f32_e32 v136, v136, v208                             // 0000000071A0: 0B11A188
	v_mul_f32_e32 v137, v137, v209                             // 0000000071A4: 0B13A389
	v_mul_f32_e32 v138, v138, v210                             // 0000000071A8: 0B15A58A
	v_mul_f32_e32 v139, v139, v211                             // 0000000071AC: 0B17A78B
	v_pk_mul_f32 v[4:5], v[140:141], v[140:141]                // 0000000071B0: D3B14004 1803198C
	v_pk_mul_f32 v[6:7], v[142:143], v[142:143]                // 0000000071B8: D3B14006 18031D8E
	v_pk_fma_f32 v[4:5], v[4:5], s[78:79], v[8:9]              // 0000000071C0: D3B04004 1C209D04
	v_pk_fma_f32 v[6:7], v[6:7], s[78:79], v[8:9]              // 0000000071C8: D3B04006 1C209D06
	v_pk_mul_f32 v[4:5], v[4:5], v[140:141]                    // 0000000071D0: D3B14004 18031904
	v_pk_mul_f32 v[6:7], v[6:7], v[142:143]                    // 0000000071D8: D3B14006 18031D06
	v_pk_mul_f32 v[4:5], v[4:5], s[60:61]                      // 0000000071E0: D3B14004 18007904
	v_pk_mul_f32 v[6:7], v[6:7], s[60:61]                      // 0000000071E8: D3B14006 18007906
	v_exp_f32_e32 v4, v4                                       // 0000000071F0: 7E084104
	v_exp_f32_e32 v5, v5                                       // 0000000071F4: 7E0A4105
	v_exp_f32_e32 v6, v6                                       // 0000000071F8: 7E0C4106
	v_exp_f32_e32 v7, v7                                       // 0000000071FC: 7E0E4107
	v_add_f32_e64 v4, v4, 1.0                                  // 000000007200: D1010004 0001E504
	v_add_f32_e64 v5, v5, 1.0                                  // 000000007208: D1010005 0001E505
	v_add_f32_e64 v6, v6, 1.0                                  // 000000007210: D1010006 0001E506
	v_add_f32_e64 v7, v7, 1.0                                  // 000000007218: D1010007 0001E507
	v_rcp_f32_e32 v4, v4                                       // 000000007220: 7E084504
	v_rcp_f32_e32 v5, v5                                       // 000000007224: 7E0A4505
	v_rcp_f32_e32 v6, v6                                       // 000000007228: 7E0C4506
	v_rcp_f32_e32 v7, v7                                       // 00000000722C: 7E0E4507
	v_mul_f32_e32 v140, v140, v4                               // 000000007230: 0B18098C
	v_mul_f32_e32 v141, v141, v5                               // 000000007234: 0B1A0B8D
	v_mul_f32_e32 v142, v142, v6                               // 000000007238: 0B1C0D8E
	v_mul_f32_e32 v143, v143, v7                               // 00000000723C: 0B1E0F8F
	v_mul_f32_e32 v140, v140, v212                             // 000000007240: 0B19A98C
	v_mul_f32_e32 v141, v141, v213                             // 000000007244: 0B1BAB8D
	v_mul_f32_e32 v142, v142, v214                             // 000000007248: 0B1DAD8E
	v_mul_f32_e32 v143, v143, v215                             // 00000000724C: 0B1FAF8F
	v_pk_mul_f32 v[4:5], v[144:145], v[144:145]                // 000000007250: D3B14004 18032190
	v_pk_mul_f32 v[6:7], v[146:147], v[146:147]                // 000000007258: D3B14006 18032592
	v_pk_fma_f32 v[4:5], v[4:5], s[78:79], v[8:9]              // 000000007260: D3B04004 1C209D04
	v_pk_fma_f32 v[6:7], v[6:7], s[78:79], v[8:9]              // 000000007268: D3B04006 1C209D06
	v_pk_mul_f32 v[4:5], v[4:5], v[144:145]                    // 000000007270: D3B14004 18032104
	v_pk_mul_f32 v[6:7], v[6:7], v[146:147]                    // 000000007278: D3B14006 18032506
	v_pk_mul_f32 v[4:5], v[4:5], s[60:61]                      // 000000007280: D3B14004 18007904
	v_pk_mul_f32 v[6:7], v[6:7], s[60:61]                      // 000000007288: D3B14006 18007906
	v_exp_f32_e32 v4, v4                                       // 000000007290: 7E084104
	v_exp_f32_e32 v5, v5                                       // 000000007294: 7E0A4105
	v_exp_f32_e32 v6, v6                                       // 000000007298: 7E0C4106
	v_exp_f32_e32 v7, v7                                       // 00000000729C: 7E0E4107
	v_add_f32_e64 v4, v4, 1.0                                  // 0000000072A0: D1010004 0001E504
	v_add_f32_e64 v5, v5, 1.0                                  // 0000000072A8: D1010005 0001E505
	v_add_f32_e64 v6, v6, 1.0                                  // 0000000072B0: D1010006 0001E506
	v_add_f32_e64 v7, v7, 1.0                                  // 0000000072B8: D1010007 0001E507
	v_rcp_f32_e32 v4, v4                                       // 0000000072C0: 7E084504
	v_rcp_f32_e32 v5, v5                                       // 0000000072C4: 7E0A4505
	v_rcp_f32_e32 v6, v6                                       // 0000000072C8: 7E0C4506
	v_rcp_f32_e32 v7, v7                                       // 0000000072CC: 7E0E4507
	v_mul_f32_e32 v144, v144, v4                               // 0000000072D0: 0B200990
	v_mul_f32_e32 v145, v145, v5                               // 0000000072D4: 0B220B91
	v_mul_f32_e32 v146, v146, v6                               // 0000000072D8: 0B240D92
	v_mul_f32_e32 v147, v147, v7                               // 0000000072DC: 0B260F93
	v_mul_f32_e32 v144, v144, v216                             // 0000000072E0: 0B21B190
	v_mul_f32_e32 v145, v145, v217                             // 0000000072E4: 0B23B391
	v_mul_f32_e32 v146, v146, v218                             // 0000000072E8: 0B25B592
	v_mul_f32_e32 v147, v147, v219                             // 0000000072EC: 0B27B793
	v_pk_mul_f32 v[4:5], v[148:149], v[148:149]                // 0000000072F0: D3B14004 18032994
	v_pk_mul_f32 v[6:7], v[150:151], v[150:151]                // 0000000072F8: D3B14006 18032D96
	v_pk_fma_f32 v[4:5], v[4:5], s[78:79], v[8:9]              // 000000007300: D3B04004 1C209D04
	v_pk_fma_f32 v[6:7], v[6:7], s[78:79], v[8:9]              // 000000007308: D3B04006 1C209D06
	v_pk_mul_f32 v[4:5], v[4:5], v[148:149]                    // 000000007310: D3B14004 18032904
	v_pk_mul_f32 v[6:7], v[6:7], v[150:151]                    // 000000007318: D3B14006 18032D06
	v_pk_mul_f32 v[4:5], v[4:5], s[60:61]                      // 000000007320: D3B14004 18007904
	v_pk_mul_f32 v[6:7], v[6:7], s[60:61]                      // 000000007328: D3B14006 18007906
	v_exp_f32_e32 v4, v4                                       // 000000007330: 7E084104
	v_exp_f32_e32 v5, v5                                       // 000000007334: 7E0A4105
	v_exp_f32_e32 v6, v6                                       // 000000007338: 7E0C4106
	v_exp_f32_e32 v7, v7                                       // 00000000733C: 7E0E4107
	v_add_f32_e64 v4, v4, 1.0                                  // 000000007340: D1010004 0001E504
	v_add_f32_e64 v5, v5, 1.0                                  // 000000007348: D1010005 0001E505
	v_add_f32_e64 v6, v6, 1.0                                  // 000000007350: D1010006 0001E506
	v_add_f32_e64 v7, v7, 1.0                                  // 000000007358: D1010007 0001E507
	v_rcp_f32_e32 v4, v4                                       // 000000007360: 7E084504
	v_rcp_f32_e32 v5, v5                                       // 000000007364: 7E0A4505
	v_rcp_f32_e32 v6, v6                                       // 000000007368: 7E0C4506
	v_rcp_f32_e32 v7, v7                                       // 00000000736C: 7E0E4507
	v_mul_f32_e32 v148, v148, v4                               // 000000007370: 0B280994
	v_mul_f32_e32 v149, v149, v5                               // 000000007374: 0B2A0B95
	v_mul_f32_e32 v150, v150, v6                               // 000000007378: 0B2C0D96
	v_mul_f32_e32 v151, v151, v7                               // 00000000737C: 0B2E0F97
	v_mul_f32_e32 v148, v148, v220                             // 000000007380: 0B29B994
	v_mul_f32_e32 v149, v149, v221                             // 000000007384: 0B2BBB95
	v_mul_f32_e32 v150, v150, v222                             // 000000007388: 0B2DBD96
	v_mul_f32_e32 v151, v151, v223                             // 00000000738C: 0B2FBF97
	v_pk_mul_f32 v[4:5], v[152:153], v[152:153]                // 000000007390: D3B14004 18033198
	v_pk_mul_f32 v[6:7], v[154:155], v[154:155]                // 000000007398: D3B14006 1803359A
	v_pk_fma_f32 v[4:5], v[4:5], s[78:79], v[8:9]              // 0000000073A0: D3B04004 1C209D04
	v_pk_fma_f32 v[6:7], v[6:7], s[78:79], v[8:9]              // 0000000073A8: D3B04006 1C209D06
	v_pk_mul_f32 v[4:5], v[4:5], v[152:153]                    // 0000000073B0: D3B14004 18033104
	v_pk_mul_f32 v[6:7], v[6:7], v[154:155]                    // 0000000073B8: D3B14006 18033506
	v_pk_mul_f32 v[4:5], v[4:5], s[60:61]                      // 0000000073C0: D3B14004 18007904
	v_pk_mul_f32 v[6:7], v[6:7], s[60:61]                      // 0000000073C8: D3B14006 18007906
	v_exp_f32_e32 v4, v4                                       // 0000000073D0: 7E084104
	v_exp_f32_e32 v5, v5                                       // 0000000073D4: 7E0A4105
	v_exp_f32_e32 v6, v6                                       // 0000000073D8: 7E0C4106
	v_exp_f32_e32 v7, v7                                       // 0000000073DC: 7E0E4107
	v_add_f32_e64 v4, v4, 1.0                                  // 0000000073E0: D1010004 0001E504
	v_add_f32_e64 v5, v5, 1.0                                  // 0000000073E8: D1010005 0001E505
	v_add_f32_e64 v6, v6, 1.0                                  // 0000000073F0: D1010006 0001E506
	v_add_f32_e64 v7, v7, 1.0                                  // 0000000073F8: D1010007 0001E507
	v_rcp_f32_e32 v4, v4                                       // 000000007400: 7E084504
	v_rcp_f32_e32 v5, v5                                       // 000000007404: 7E0A4505
	v_rcp_f32_e32 v6, v6                                       // 000000007408: 7E0C4506
	v_rcp_f32_e32 v7, v7                                       // 00000000740C: 7E0E4507
	v_mul_f32_e32 v152, v152, v4                               // 000000007410: 0B300998
	v_mul_f32_e32 v153, v153, v5                               // 000000007414: 0B320B99
	v_mul_f32_e32 v154, v154, v6                               // 000000007418: 0B340D9A
	v_mul_f32_e32 v155, v155, v7                               // 00000000741C: 0B360F9B
	v_mul_f32_e32 v152, v152, v224                             // 000000007420: 0B31C198
	v_mul_f32_e32 v153, v153, v225                             // 000000007424: 0B33C399
	v_mul_f32_e32 v154, v154, v226                             // 000000007428: 0B35C59A
	v_mul_f32_e32 v155, v155, v227                             // 00000000742C: 0B37C79B
	v_pk_mul_f32 v[4:5], v[156:157], v[156:157]                // 000000007430: D3B14004 1803399C
	v_pk_mul_f32 v[6:7], v[158:159], v[158:159]                // 000000007438: D3B14006 18033D9E
	v_pk_fma_f32 v[4:5], v[4:5], s[78:79], v[8:9]              // 000000007440: D3B04004 1C209D04
	v_pk_fma_f32 v[6:7], v[6:7], s[78:79], v[8:9]              // 000000007448: D3B04006 1C209D06
	v_pk_mul_f32 v[4:5], v[4:5], v[156:157]                    // 000000007450: D3B14004 18033904
	v_pk_mul_f32 v[6:7], v[6:7], v[158:159]                    // 000000007458: D3B14006 18033D06
	v_pk_mul_f32 v[4:5], v[4:5], s[60:61]                      // 000000007460: D3B14004 18007904
	v_pk_mul_f32 v[6:7], v[6:7], s[60:61]                      // 000000007468: D3B14006 18007906
	v_exp_f32_e32 v4, v4                                       // 000000007470: 7E084104
	v_exp_f32_e32 v5, v5                                       // 000000007474: 7E0A4105
	v_exp_f32_e32 v6, v6                                       // 000000007478: 7E0C4106
	v_exp_f32_e32 v7, v7                                       // 00000000747C: 7E0E4107
	v_add_f32_e64 v4, v4, 1.0                                  // 000000007480: D1010004 0001E504
	v_add_f32_e64 v5, v5, 1.0                                  // 000000007488: D1010005 0001E505
	v_add_f32_e64 v6, v6, 1.0                                  // 000000007490: D1010006 0001E506
	v_add_f32_e64 v7, v7, 1.0                                  // 000000007498: D1010007 0001E507
	v_rcp_f32_e32 v4, v4                                       // 0000000074A0: 7E084504
	v_rcp_f32_e32 v5, v5                                       // 0000000074A4: 7E0A4505
	v_rcp_f32_e32 v6, v6                                       // 0000000074A8: 7E0C4506
	v_rcp_f32_e32 v7, v7                                       // 0000000074AC: 7E0E4507
	v_mul_f32_e32 v156, v156, v4                               // 0000000074B0: 0B38099C
	v_mul_f32_e32 v157, v157, v5                               // 0000000074B4: 0B3A0B9D
	v_mul_f32_e32 v158, v158, v6                               // 0000000074B8: 0B3C0D9E
	v_mul_f32_e32 v159, v159, v7                               // 0000000074BC: 0B3E0F9F
	v_mul_f32_e32 v156, v156, v228                             // 0000000074C0: 0B39C99C
	v_mul_f32_e32 v157, v157, v229                             // 0000000074C4: 0B3BCB9D
	v_mul_f32_e32 v158, v158, v230                             // 0000000074C8: 0B3DCD9E
	v_mul_f32_e32 v159, v159, v231                             // 0000000074CC: 0B3FCF9F
	s_branch label_14F5                                        // 0000000074D0: BF820240

00000000000074d4 <label_12B5>:
	v_mul_f32_e64 v4, -v88, s6                                 // 0000000074D4: D1050004 20000D58
	v_mul_f32_e64 v5, -v89, s6                                 // 0000000074DC: D1050005 20000D59
	v_mul_f32_e64 v6, -v90, s6                                 // 0000000074E4: D1050006 20000D5A
	v_mul_f32_e64 v7, -v91, s6                                 // 0000000074EC: D1050007 20000D5B
	v_exp_f32_e32 v4, v4                                       // 0000000074F4: 7E084104
	v_exp_f32_e32 v5, v5                                       // 0000000074F8: 7E0A4105
	v_exp_f32_e32 v6, v6                                       // 0000000074FC: 7E0C4106
	v_exp_f32_e32 v7, v7                                       // 000000007500: 7E0E4107
	v_add_f32_e64 v4, v4, 1.0                                  // 000000007504: D1010004 0001E504
	v_add_f32_e64 v5, v5, 1.0                                  // 00000000750C: D1010005 0001E505
	v_add_f32_e64 v6, v6, 1.0                                  // 000000007514: D1010006 0001E506
	v_add_f32_e64 v7, v7, 1.0                                  // 00000000751C: D1010007 0001E507
	v_rcp_f32_e32 v4, v4                                       // 000000007524: 7E084504
	v_rcp_f32_e32 v5, v5                                       // 000000007528: 7E0A4505
	v_rcp_f32_e32 v6, v6                                       // 00000000752C: 7E0C4506
	v_rcp_f32_e32 v7, v7                                       // 000000007530: 7E0E4507
	v_mul_f32_e32 v88, v88, v4                                 // 000000007534: 0AB00958
	v_mul_f32_e32 v89, v89, v5                                 // 000000007538: 0AB20B59
	v_mul_f32_e32 v90, v90, v6                                 // 00000000753C: 0AB40D5A
	v_mul_f32_e32 v91, v91, v7                                 // 000000007540: 0AB60F5B
	v_mul_f32_e32 v88, v88, v160                               // 000000007544: 0AB14158
	v_mul_f32_e32 v89, v89, v161                               // 000000007548: 0AB34359
	v_mul_f32_e32 v90, v90, v162                               // 00000000754C: 0AB5455A
	v_mul_f32_e32 v91, v91, v163                               // 000000007550: 0AB7475B
	v_mul_f32_e64 v4, -v92, s6                                 // 000000007554: D1050004 20000D5C
	v_mul_f32_e64 v5, -v93, s6                                 // 00000000755C: D1050005 20000D5D
	v_mul_f32_e64 v6, -v94, s6                                 // 000000007564: D1050006 20000D5E
	v_mul_f32_e64 v7, -v95, s6                                 // 00000000756C: D1050007 20000D5F
	v_exp_f32_e32 v4, v4                                       // 000000007574: 7E084104
	v_exp_f32_e32 v5, v5                                       // 000000007578: 7E0A4105
	v_exp_f32_e32 v6, v6                                       // 00000000757C: 7E0C4106
	v_exp_f32_e32 v7, v7                                       // 000000007580: 7E0E4107
	v_add_f32_e64 v4, v4, 1.0                                  // 000000007584: D1010004 0001E504
	v_add_f32_e64 v5, v5, 1.0                                  // 00000000758C: D1010005 0001E505
	v_add_f32_e64 v6, v6, 1.0                                  // 000000007594: D1010006 0001E506
	v_add_f32_e64 v7, v7, 1.0                                  // 00000000759C: D1010007 0001E507
	v_rcp_f32_e32 v4, v4                                       // 0000000075A4: 7E084504
	v_rcp_f32_e32 v5, v5                                       // 0000000075A8: 7E0A4505
	v_rcp_f32_e32 v6, v6                                       // 0000000075AC: 7E0C4506
	v_rcp_f32_e32 v7, v7                                       // 0000000075B0: 7E0E4507
	v_mul_f32_e32 v92, v92, v4                                 // 0000000075B4: 0AB8095C
	v_mul_f32_e32 v93, v93, v5                                 // 0000000075B8: 0ABA0B5D
	v_mul_f32_e32 v94, v94, v6                                 // 0000000075BC: 0ABC0D5E
	v_mul_f32_e32 v95, v95, v7                                 // 0000000075C0: 0ABE0F5F
	v_mul_f32_e32 v92, v92, v164                               // 0000000075C4: 0AB9495C
	v_mul_f32_e32 v93, v93, v165                               // 0000000075C8: 0ABB4B5D
	v_mul_f32_e32 v94, v94, v166                               // 0000000075CC: 0ABD4D5E
	v_mul_f32_e32 v95, v95, v167                               // 0000000075D0: 0ABF4F5F
	v_mul_f32_e64 v4, -v96, s6                                 // 0000000075D4: D1050004 20000D60
	v_mul_f32_e64 v5, -v97, s6                                 // 0000000075DC: D1050005 20000D61
	v_mul_f32_e64 v6, -v98, s6                                 // 0000000075E4: D1050006 20000D62
	v_mul_f32_e64 v7, -v99, s6                                 // 0000000075EC: D1050007 20000D63
	v_exp_f32_e32 v4, v4                                       // 0000000075F4: 7E084104
	v_exp_f32_e32 v5, v5                                       // 0000000075F8: 7E0A4105
	v_exp_f32_e32 v6, v6                                       // 0000000075FC: 7E0C4106
	v_exp_f32_e32 v7, v7                                       // 000000007600: 7E0E4107
	v_add_f32_e64 v4, v4, 1.0                                  // 000000007604: D1010004 0001E504
	v_add_f32_e64 v5, v5, 1.0                                  // 00000000760C: D1010005 0001E505
	v_add_f32_e64 v6, v6, 1.0                                  // 000000007614: D1010006 0001E506
	v_add_f32_e64 v7, v7, 1.0                                  // 00000000761C: D1010007 0001E507
	v_rcp_f32_e32 v4, v4                                       // 000000007624: 7E084504
	v_rcp_f32_e32 v5, v5                                       // 000000007628: 7E0A4505
	v_rcp_f32_e32 v6, v6                                       // 00000000762C: 7E0C4506
	v_rcp_f32_e32 v7, v7                                       // 000000007630: 7E0E4507
	v_mul_f32_e32 v96, v96, v4                                 // 000000007634: 0AC00960
	v_mul_f32_e32 v97, v97, v5                                 // 000000007638: 0AC20B61
	v_mul_f32_e32 v98, v98, v6                                 // 00000000763C: 0AC40D62
	v_mul_f32_e32 v99, v99, v7                                 // 000000007640: 0AC60F63
	v_mul_f32_e32 v96, v96, v168                               // 000000007644: 0AC15160
	v_mul_f32_e32 v97, v97, v169                               // 000000007648: 0AC35361
	v_mul_f32_e32 v98, v98, v170                               // 00000000764C: 0AC55562
	v_mul_f32_e32 v99, v99, v171                               // 000000007650: 0AC75763
	v_mul_f32_e64 v4, -v100, s6                                // 000000007654: D1050004 20000D64
	v_mul_f32_e64 v5, -v101, s6                                // 00000000765C: D1050005 20000D65
	v_mul_f32_e64 v6, -v102, s6                                // 000000007664: D1050006 20000D66
	v_mul_f32_e64 v7, -v103, s6                                // 00000000766C: D1050007 20000D67
	v_exp_f32_e32 v4, v4                                       // 000000007674: 7E084104
	v_exp_f32_e32 v5, v5                                       // 000000007678: 7E0A4105
	v_exp_f32_e32 v6, v6                                       // 00000000767C: 7E0C4106
	v_exp_f32_e32 v7, v7                                       // 000000007680: 7E0E4107
	v_add_f32_e64 v4, v4, 1.0                                  // 000000007684: D1010004 0001E504
	v_add_f32_e64 v5, v5, 1.0                                  // 00000000768C: D1010005 0001E505
	v_add_f32_e64 v6, v6, 1.0                                  // 000000007694: D1010006 0001E506
	v_add_f32_e64 v7, v7, 1.0                                  // 00000000769C: D1010007 0001E507
	v_rcp_f32_e32 v4, v4                                       // 0000000076A4: 7E084504
	v_rcp_f32_e32 v5, v5                                       // 0000000076A8: 7E0A4505
	v_rcp_f32_e32 v6, v6                                       // 0000000076AC: 7E0C4506
	v_rcp_f32_e32 v7, v7                                       // 0000000076B0: 7E0E4507
	v_mul_f32_e32 v100, v100, v4                               // 0000000076B4: 0AC80964
	v_mul_f32_e32 v101, v101, v5                               // 0000000076B8: 0ACA0B65
	v_mul_f32_e32 v102, v102, v6                               // 0000000076BC: 0ACC0D66
	v_mul_f32_e32 v103, v103, v7                               // 0000000076C0: 0ACE0F67
	v_mul_f32_e32 v100, v100, v172                             // 0000000076C4: 0AC95964
	v_mul_f32_e32 v101, v101, v173                             // 0000000076C8: 0ACB5B65
	v_mul_f32_e32 v102, v102, v174                             // 0000000076CC: 0ACD5D66
	v_mul_f32_e32 v103, v103, v175                             // 0000000076D0: 0ACF5F67
	v_mul_f32_e64 v4, -v104, s6                                // 0000000076D4: D1050004 20000D68
	v_mul_f32_e64 v5, -v105, s6                                // 0000000076DC: D1050005 20000D69
	v_mul_f32_e64 v6, -v106, s6                                // 0000000076E4: D1050006 20000D6A
	v_mul_f32_e64 v7, -v107, s6                                // 0000000076EC: D1050007 20000D6B
	v_exp_f32_e32 v4, v4                                       // 0000000076F4: 7E084104
	v_exp_f32_e32 v5, v5                                       // 0000000076F8: 7E0A4105
	v_exp_f32_e32 v6, v6                                       // 0000000076FC: 7E0C4106
	v_exp_f32_e32 v7, v7                                       // 000000007700: 7E0E4107
	v_add_f32_e64 v4, v4, 1.0                                  // 000000007704: D1010004 0001E504
	v_add_f32_e64 v5, v5, 1.0                                  // 00000000770C: D1010005 0001E505
	v_add_f32_e64 v6, v6, 1.0                                  // 000000007714: D1010006 0001E506
	v_add_f32_e64 v7, v7, 1.0                                  // 00000000771C: D1010007 0001E507
	v_rcp_f32_e32 v4, v4                                       // 000000007724: 7E084504
	v_rcp_f32_e32 v5, v5                                       // 000000007728: 7E0A4505
	v_rcp_f32_e32 v6, v6                                       // 00000000772C: 7E0C4506
	v_rcp_f32_e32 v7, v7                                       // 000000007730: 7E0E4507
	v_mul_f32_e32 v104, v104, v4                               // 000000007734: 0AD00968
	v_mul_f32_e32 v105, v105, v5                               // 000000007738: 0AD20B69
	v_mul_f32_e32 v106, v106, v6                               // 00000000773C: 0AD40D6A
	v_mul_f32_e32 v107, v107, v7                               // 000000007740: 0AD60F6B
	v_mul_f32_e32 v104, v104, v176                             // 000000007744: 0AD16168
	v_mul_f32_e32 v105, v105, v177                             // 000000007748: 0AD36369
	v_mul_f32_e32 v106, v106, v178                             // 00000000774C: 0AD5656A
	v_mul_f32_e32 v107, v107, v179                             // 000000007750: 0AD7676B
	v_mul_f32_e64 v4, -v108, s6                                // 000000007754: D1050004 20000D6C
	v_mul_f32_e64 v5, -v109, s6                                // 00000000775C: D1050005 20000D6D
	v_mul_f32_e64 v6, -v110, s6                                // 000000007764: D1050006 20000D6E
	v_mul_f32_e64 v7, -v111, s6                                // 00000000776C: D1050007 20000D6F
	v_exp_f32_e32 v4, v4                                       // 000000007774: 7E084104
	v_exp_f32_e32 v5, v5                                       // 000000007778: 7E0A4105
	v_exp_f32_e32 v6, v6                                       // 00000000777C: 7E0C4106
	v_exp_f32_e32 v7, v7                                       // 000000007780: 7E0E4107
	v_add_f32_e64 v4, v4, 1.0                                  // 000000007784: D1010004 0001E504
	v_add_f32_e64 v5, v5, 1.0                                  // 00000000778C: D1010005 0001E505
	v_add_f32_e64 v6, v6, 1.0                                  // 000000007794: D1010006 0001E506
	v_add_f32_e64 v7, v7, 1.0                                  // 00000000779C: D1010007 0001E507
	v_rcp_f32_e32 v4, v4                                       // 0000000077A4: 7E084504
	v_rcp_f32_e32 v5, v5                                       // 0000000077A8: 7E0A4505
	v_rcp_f32_e32 v6, v6                                       // 0000000077AC: 7E0C4506
	v_rcp_f32_e32 v7, v7                                       // 0000000077B0: 7E0E4507
	v_mul_f32_e32 v108, v108, v4                               // 0000000077B4: 0AD8096C
	v_mul_f32_e32 v109, v109, v5                               // 0000000077B8: 0ADA0B6D
	v_mul_f32_e32 v110, v110, v6                               // 0000000077BC: 0ADC0D6E
	v_mul_f32_e32 v111, v111, v7                               // 0000000077C0: 0ADE0F6F
	v_mul_f32_e32 v108, v108, v180                             // 0000000077C4: 0AD9696C
	v_mul_f32_e32 v109, v109, v181                             // 0000000077C8: 0ADB6B6D
	v_mul_f32_e32 v110, v110, v182                             // 0000000077CC: 0ADD6D6E
	v_mul_f32_e32 v111, v111, v183                             // 0000000077D0: 0ADF6F6F
	v_mul_f32_e64 v4, -v112, s6                                // 0000000077D4: D1050004 20000D70
	v_mul_f32_e64 v5, -v113, s6                                // 0000000077DC: D1050005 20000D71
	v_mul_f32_e64 v6, -v114, s6                                // 0000000077E4: D1050006 20000D72
	v_mul_f32_e64 v7, -v115, s6                                // 0000000077EC: D1050007 20000D73
	v_exp_f32_e32 v4, v4                                       // 0000000077F4: 7E084104
	v_exp_f32_e32 v5, v5                                       // 0000000077F8: 7E0A4105
	v_exp_f32_e32 v6, v6                                       // 0000000077FC: 7E0C4106
	v_exp_f32_e32 v7, v7                                       // 000000007800: 7E0E4107
	v_add_f32_e64 v4, v4, 1.0                                  // 000000007804: D1010004 0001E504
	v_add_f32_e64 v5, v5, 1.0                                  // 00000000780C: D1010005 0001E505
	v_add_f32_e64 v6, v6, 1.0                                  // 000000007814: D1010006 0001E506
	v_add_f32_e64 v7, v7, 1.0                                  // 00000000781C: D1010007 0001E507
	v_rcp_f32_e32 v4, v4                                       // 000000007824: 7E084504
	v_rcp_f32_e32 v5, v5                                       // 000000007828: 7E0A4505
	v_rcp_f32_e32 v6, v6                                       // 00000000782C: 7E0C4506
	v_rcp_f32_e32 v7, v7                                       // 000000007830: 7E0E4507
	v_mul_f32_e32 v112, v112, v4                               // 000000007834: 0AE00970
	v_mul_f32_e32 v113, v113, v5                               // 000000007838: 0AE20B71
	v_mul_f32_e32 v114, v114, v6                               // 00000000783C: 0AE40D72
	v_mul_f32_e32 v115, v115, v7                               // 000000007840: 0AE60F73
	v_mul_f32_e32 v112, v112, v184                             // 000000007844: 0AE17170
	v_mul_f32_e32 v113, v113, v185                             // 000000007848: 0AE37371
	v_mul_f32_e32 v114, v114, v186                             // 00000000784C: 0AE57572
	v_mul_f32_e32 v115, v115, v187                             // 000000007850: 0AE77773
	v_mul_f32_e64 v4, -v116, s6                                // 000000007854: D1050004 20000D74
	v_mul_f32_e64 v5, -v117, s6                                // 00000000785C: D1050005 20000D75
	v_mul_f32_e64 v6, -v118, s6                                // 000000007864: D1050006 20000D76
	v_mul_f32_e64 v7, -v119, s6                                // 00000000786C: D1050007 20000D77
	v_exp_f32_e32 v4, v4                                       // 000000007874: 7E084104
	v_exp_f32_e32 v5, v5                                       // 000000007878: 7E0A4105
	v_exp_f32_e32 v6, v6                                       // 00000000787C: 7E0C4106
	v_exp_f32_e32 v7, v7                                       // 000000007880: 7E0E4107
	v_add_f32_e64 v4, v4, 1.0                                  // 000000007884: D1010004 0001E504
	v_add_f32_e64 v5, v5, 1.0                                  // 00000000788C: D1010005 0001E505
	v_add_f32_e64 v6, v6, 1.0                                  // 000000007894: D1010006 0001E506
	v_add_f32_e64 v7, v7, 1.0                                  // 00000000789C: D1010007 0001E507
	v_rcp_f32_e32 v4, v4                                       // 0000000078A4: 7E084504
	v_rcp_f32_e32 v5, v5                                       // 0000000078A8: 7E0A4505
	v_rcp_f32_e32 v6, v6                                       // 0000000078AC: 7E0C4506
	v_rcp_f32_e32 v7, v7                                       // 0000000078B0: 7E0E4507
	v_mul_f32_e32 v116, v116, v4                               // 0000000078B4: 0AE80974
	v_mul_f32_e32 v117, v117, v5                               // 0000000078B8: 0AEA0B75
	v_mul_f32_e32 v118, v118, v6                               // 0000000078BC: 0AEC0D76
	v_mul_f32_e32 v119, v119, v7                               // 0000000078C0: 0AEE0F77
	v_mul_f32_e32 v116, v116, v188                             // 0000000078C4: 0AE97974
	v_mul_f32_e32 v117, v117, v189                             // 0000000078C8: 0AEB7B75
	v_mul_f32_e32 v118, v118, v190                             // 0000000078CC: 0AED7D76
	v_mul_f32_e32 v119, v119, v191                             // 0000000078D0: 0AEF7F77
	v_mul_f32_e64 v4, -v120, s6                                // 0000000078D4: D1050004 20000D78
	v_mul_f32_e64 v5, -v121, s6                                // 0000000078DC: D1050005 20000D79
	v_mul_f32_e64 v6, -v122, s6                                // 0000000078E4: D1050006 20000D7A
	v_mul_f32_e64 v7, -v123, s6                                // 0000000078EC: D1050007 20000D7B
	v_exp_f32_e32 v4, v4                                       // 0000000078F4: 7E084104
	v_exp_f32_e32 v5, v5                                       // 0000000078F8: 7E0A4105
	v_exp_f32_e32 v6, v6                                       // 0000000078FC: 7E0C4106
	v_exp_f32_e32 v7, v7                                       // 000000007900: 7E0E4107
	v_add_f32_e64 v4, v4, 1.0                                  // 000000007904: D1010004 0001E504
	v_add_f32_e64 v5, v5, 1.0                                  // 00000000790C: D1010005 0001E505
	v_add_f32_e64 v6, v6, 1.0                                  // 000000007914: D1010006 0001E506
	v_add_f32_e64 v7, v7, 1.0                                  // 00000000791C: D1010007 0001E507
	v_rcp_f32_e32 v4, v4                                       // 000000007924: 7E084504
	v_rcp_f32_e32 v5, v5                                       // 000000007928: 7E0A4505
	v_rcp_f32_e32 v6, v6                                       // 00000000792C: 7E0C4506
	v_rcp_f32_e32 v7, v7                                       // 000000007930: 7E0E4507
	v_mul_f32_e32 v120, v120, v4                               // 000000007934: 0AF00978
	v_mul_f32_e32 v121, v121, v5                               // 000000007938: 0AF20B79
	v_mul_f32_e32 v122, v122, v6                               // 00000000793C: 0AF40D7A
	v_mul_f32_e32 v123, v123, v7                               // 000000007940: 0AF60F7B
	v_mul_f32_e32 v120, v120, v192                             // 000000007944: 0AF18178
	v_mul_f32_e32 v121, v121, v193                             // 000000007948: 0AF38379
	v_mul_f32_e32 v122, v122, v194                             // 00000000794C: 0AF5857A
	v_mul_f32_e32 v123, v123, v195                             // 000000007950: 0AF7877B
	v_mul_f32_e64 v4, -v124, s6                                // 000000007954: D1050004 20000D7C
	v_mul_f32_e64 v5, -v125, s6                                // 00000000795C: D1050005 20000D7D
	v_mul_f32_e64 v6, -v126, s6                                // 000000007964: D1050006 20000D7E
	v_mul_f32_e64 v7, -v127, s6                                // 00000000796C: D1050007 20000D7F
	v_exp_f32_e32 v4, v4                                       // 000000007974: 7E084104
	v_exp_f32_e32 v5, v5                                       // 000000007978: 7E0A4105
	v_exp_f32_e32 v6, v6                                       // 00000000797C: 7E0C4106
	v_exp_f32_e32 v7, v7                                       // 000000007980: 7E0E4107
	v_add_f32_e64 v4, v4, 1.0                                  // 000000007984: D1010004 0001E504
	v_add_f32_e64 v5, v5, 1.0                                  // 00000000798C: D1010005 0001E505
	v_add_f32_e64 v6, v6, 1.0                                  // 000000007994: D1010006 0001E506
	v_add_f32_e64 v7, v7, 1.0                                  // 00000000799C: D1010007 0001E507
	v_rcp_f32_e32 v4, v4                                       // 0000000079A4: 7E084504
	v_rcp_f32_e32 v5, v5                                       // 0000000079A8: 7E0A4505
	v_rcp_f32_e32 v6, v6                                       // 0000000079AC: 7E0C4506
	v_rcp_f32_e32 v7, v7                                       // 0000000079B0: 7E0E4507
	v_mul_f32_e32 v124, v124, v4                               // 0000000079B4: 0AF8097C
	v_mul_f32_e32 v125, v125, v5                               // 0000000079B8: 0AFA0B7D
	v_mul_f32_e32 v126, v126, v6                               // 0000000079BC: 0AFC0D7E
	v_mul_f32_e32 v127, v127, v7                               // 0000000079C0: 0AFE0F7F
	v_mul_f32_e32 v124, v124, v196                             // 0000000079C4: 0AF9897C
	v_mul_f32_e32 v125, v125, v197                             // 0000000079C8: 0AFB8B7D
	v_mul_f32_e32 v126, v126, v198                             // 0000000079CC: 0AFD8D7E
	v_mul_f32_e32 v127, v127, v199                             // 0000000079D0: 0AFF8F7F
	v_mul_f32_e64 v4, -v128, s6                                // 0000000079D4: D1050004 20000D80
	v_mul_f32_e64 v5, -v129, s6                                // 0000000079DC: D1050005 20000D81
	v_mul_f32_e64 v6, -v130, s6                                // 0000000079E4: D1050006 20000D82
	v_mul_f32_e64 v7, -v131, s6                                // 0000000079EC: D1050007 20000D83
	v_exp_f32_e32 v4, v4                                       // 0000000079F4: 7E084104
	v_exp_f32_e32 v5, v5                                       // 0000000079F8: 7E0A4105
	v_exp_f32_e32 v6, v6                                       // 0000000079FC: 7E0C4106
	v_exp_f32_e32 v7, v7                                       // 000000007A00: 7E0E4107
	v_add_f32_e64 v4, v4, 1.0                                  // 000000007A04: D1010004 0001E504
	v_add_f32_e64 v5, v5, 1.0                                  // 000000007A0C: D1010005 0001E505
	v_add_f32_e64 v6, v6, 1.0                                  // 000000007A14: D1010006 0001E506
	v_add_f32_e64 v7, v7, 1.0                                  // 000000007A1C: D1010007 0001E507
	v_rcp_f32_e32 v4, v4                                       // 000000007A24: 7E084504
	v_rcp_f32_e32 v5, v5                                       // 000000007A28: 7E0A4505
	v_rcp_f32_e32 v6, v6                                       // 000000007A2C: 7E0C4506
	v_rcp_f32_e32 v7, v7                                       // 000000007A30: 7E0E4507
	v_mul_f32_e32 v128, v128, v4                               // 000000007A34: 0B000980
	v_mul_f32_e32 v129, v129, v5                               // 000000007A38: 0B020B81
	v_mul_f32_e32 v130, v130, v6                               // 000000007A3C: 0B040D82
	v_mul_f32_e32 v131, v131, v7                               // 000000007A40: 0B060F83
	v_mul_f32_e32 v128, v128, v200                             // 000000007A44: 0B019180
	v_mul_f32_e32 v129, v129, v201                             // 000000007A48: 0B039381
	v_mul_f32_e32 v130, v130, v202                             // 000000007A4C: 0B059582
	v_mul_f32_e32 v131, v131, v203                             // 000000007A50: 0B079783
	v_mul_f32_e64 v4, -v132, s6                                // 000000007A54: D1050004 20000D84
	v_mul_f32_e64 v5, -v133, s6                                // 000000007A5C: D1050005 20000D85
	v_mul_f32_e64 v6, -v134, s6                                // 000000007A64: D1050006 20000D86
	v_mul_f32_e64 v7, -v135, s6                                // 000000007A6C: D1050007 20000D87
	v_exp_f32_e32 v4, v4                                       // 000000007A74: 7E084104
	v_exp_f32_e32 v5, v5                                       // 000000007A78: 7E0A4105
	v_exp_f32_e32 v6, v6                                       // 000000007A7C: 7E0C4106
	v_exp_f32_e32 v7, v7                                       // 000000007A80: 7E0E4107
	v_add_f32_e64 v4, v4, 1.0                                  // 000000007A84: D1010004 0001E504
	v_add_f32_e64 v5, v5, 1.0                                  // 000000007A8C: D1010005 0001E505
	v_add_f32_e64 v6, v6, 1.0                                  // 000000007A94: D1010006 0001E506
	v_add_f32_e64 v7, v7, 1.0                                  // 000000007A9C: D1010007 0001E507
	v_rcp_f32_e32 v4, v4                                       // 000000007AA4: 7E084504
	v_rcp_f32_e32 v5, v5                                       // 000000007AA8: 7E0A4505
	v_rcp_f32_e32 v6, v6                                       // 000000007AAC: 7E0C4506
	v_rcp_f32_e32 v7, v7                                       // 000000007AB0: 7E0E4507
	v_mul_f32_e32 v132, v132, v4                               // 000000007AB4: 0B080984
	v_mul_f32_e32 v133, v133, v5                               // 000000007AB8: 0B0A0B85
	v_mul_f32_e32 v134, v134, v6                               // 000000007ABC: 0B0C0D86
	v_mul_f32_e32 v135, v135, v7                               // 000000007AC0: 0B0E0F87
	v_mul_f32_e32 v132, v132, v204                             // 000000007AC4: 0B099984
	v_mul_f32_e32 v133, v133, v205                             // 000000007AC8: 0B0B9B85
	v_mul_f32_e32 v134, v134, v206                             // 000000007ACC: 0B0D9D86
	v_mul_f32_e32 v135, v135, v207                             // 000000007AD0: 0B0F9F87
	v_mul_f32_e64 v4, -v136, s6                                // 000000007AD4: D1050004 20000D88
	v_mul_f32_e64 v5, -v137, s6                                // 000000007ADC: D1050005 20000D89
	v_mul_f32_e64 v6, -v138, s6                                // 000000007AE4: D1050006 20000D8A
	v_mul_f32_e64 v7, -v139, s6                                // 000000007AEC: D1050007 20000D8B
	v_exp_f32_e32 v4, v4                                       // 000000007AF4: 7E084104
	v_exp_f32_e32 v5, v5                                       // 000000007AF8: 7E0A4105
	v_exp_f32_e32 v6, v6                                       // 000000007AFC: 7E0C4106
	v_exp_f32_e32 v7, v7                                       // 000000007B00: 7E0E4107
	v_add_f32_e64 v4, v4, 1.0                                  // 000000007B04: D1010004 0001E504
	v_add_f32_e64 v5, v5, 1.0                                  // 000000007B0C: D1010005 0001E505
	v_add_f32_e64 v6, v6, 1.0                                  // 000000007B14: D1010006 0001E506
	v_add_f32_e64 v7, v7, 1.0                                  // 000000007B1C: D1010007 0001E507
	v_rcp_f32_e32 v4, v4                                       // 000000007B24: 7E084504
	v_rcp_f32_e32 v5, v5                                       // 000000007B28: 7E0A4505
	v_rcp_f32_e32 v6, v6                                       // 000000007B2C: 7E0C4506
	v_rcp_f32_e32 v7, v7                                       // 000000007B30: 7E0E4507
	v_mul_f32_e32 v136, v136, v4                               // 000000007B34: 0B100988
	v_mul_f32_e32 v137, v137, v5                               // 000000007B38: 0B120B89
	v_mul_f32_e32 v138, v138, v6                               // 000000007B3C: 0B140D8A
	v_mul_f32_e32 v139, v139, v7                               // 000000007B40: 0B160F8B
	v_mul_f32_e32 v136, v136, v208                             // 000000007B44: 0B11A188
	v_mul_f32_e32 v137, v137, v209                             // 000000007B48: 0B13A389
	v_mul_f32_e32 v138, v138, v210                             // 000000007B4C: 0B15A58A
	v_mul_f32_e32 v139, v139, v211                             // 000000007B50: 0B17A78B
	v_mul_f32_e64 v4, -v140, s6                                // 000000007B54: D1050004 20000D8C
	v_mul_f32_e64 v5, -v141, s6                                // 000000007B5C: D1050005 20000D8D
	v_mul_f32_e64 v6, -v142, s6                                // 000000007B64: D1050006 20000D8E
	v_mul_f32_e64 v7, -v143, s6                                // 000000007B6C: D1050007 20000D8F
	v_exp_f32_e32 v4, v4                                       // 000000007B74: 7E084104
	v_exp_f32_e32 v5, v5                                       // 000000007B78: 7E0A4105
	v_exp_f32_e32 v6, v6                                       // 000000007B7C: 7E0C4106
	v_exp_f32_e32 v7, v7                                       // 000000007B80: 7E0E4107
	v_add_f32_e64 v4, v4, 1.0                                  // 000000007B84: D1010004 0001E504
	v_add_f32_e64 v5, v5, 1.0                                  // 000000007B8C: D1010005 0001E505
	v_add_f32_e64 v6, v6, 1.0                                  // 000000007B94: D1010006 0001E506
	v_add_f32_e64 v7, v7, 1.0                                  // 000000007B9C: D1010007 0001E507
	v_rcp_f32_e32 v4, v4                                       // 000000007BA4: 7E084504
	v_rcp_f32_e32 v5, v5                                       // 000000007BA8: 7E0A4505
	v_rcp_f32_e32 v6, v6                                       // 000000007BAC: 7E0C4506
	v_rcp_f32_e32 v7, v7                                       // 000000007BB0: 7E0E4507
	v_mul_f32_e32 v140, v140, v4                               // 000000007BB4: 0B18098C
	v_mul_f32_e32 v141, v141, v5                               // 000000007BB8: 0B1A0B8D
	v_mul_f32_e32 v142, v142, v6                               // 000000007BBC: 0B1C0D8E
	v_mul_f32_e32 v143, v143, v7                               // 000000007BC0: 0B1E0F8F
	v_mul_f32_e32 v140, v140, v212                             // 000000007BC4: 0B19A98C
	v_mul_f32_e32 v141, v141, v213                             // 000000007BC8: 0B1BAB8D
	v_mul_f32_e32 v142, v142, v214                             // 000000007BCC: 0B1DAD8E
	v_mul_f32_e32 v143, v143, v215                             // 000000007BD0: 0B1FAF8F
	v_mul_f32_e64 v4, -v144, s6                                // 000000007BD4: D1050004 20000D90
	v_mul_f32_e64 v5, -v145, s6                                // 000000007BDC: D1050005 20000D91
	v_mul_f32_e64 v6, -v146, s6                                // 000000007BE4: D1050006 20000D92
	v_mul_f32_e64 v7, -v147, s6                                // 000000007BEC: D1050007 20000D93
	v_exp_f32_e32 v4, v4                                       // 000000007BF4: 7E084104
	v_exp_f32_e32 v5, v5                                       // 000000007BF8: 7E0A4105
	v_exp_f32_e32 v6, v6                                       // 000000007BFC: 7E0C4106
	v_exp_f32_e32 v7, v7                                       // 000000007C00: 7E0E4107
	v_add_f32_e64 v4, v4, 1.0                                  // 000000007C04: D1010004 0001E504
	v_add_f32_e64 v5, v5, 1.0                                  // 000000007C0C: D1010005 0001E505
	v_add_f32_e64 v6, v6, 1.0                                  // 000000007C14: D1010006 0001E506
	v_add_f32_e64 v7, v7, 1.0                                  // 000000007C1C: D1010007 0001E507
	v_rcp_f32_e32 v4, v4                                       // 000000007C24: 7E084504
	v_rcp_f32_e32 v5, v5                                       // 000000007C28: 7E0A4505
	v_rcp_f32_e32 v6, v6                                       // 000000007C2C: 7E0C4506
	v_rcp_f32_e32 v7, v7                                       // 000000007C30: 7E0E4507
	v_mul_f32_e32 v144, v144, v4                               // 000000007C34: 0B200990
	v_mul_f32_e32 v145, v145, v5                               // 000000007C38: 0B220B91
	v_mul_f32_e32 v146, v146, v6                               // 000000007C3C: 0B240D92
	v_mul_f32_e32 v147, v147, v7                               // 000000007C40: 0B260F93
	v_mul_f32_e32 v144, v144, v216                             // 000000007C44: 0B21B190
	v_mul_f32_e32 v145, v145, v217                             // 000000007C48: 0B23B391
	v_mul_f32_e32 v146, v146, v218                             // 000000007C4C: 0B25B592
	v_mul_f32_e32 v147, v147, v219                             // 000000007C50: 0B27B793
	v_mul_f32_e64 v4, -v148, s6                                // 000000007C54: D1050004 20000D94
	v_mul_f32_e64 v5, -v149, s6                                // 000000007C5C: D1050005 20000D95
	v_mul_f32_e64 v6, -v150, s6                                // 000000007C64: D1050006 20000D96
	v_mul_f32_e64 v7, -v151, s6                                // 000000007C6C: D1050007 20000D97
	v_exp_f32_e32 v4, v4                                       // 000000007C74: 7E084104
	v_exp_f32_e32 v5, v5                                       // 000000007C78: 7E0A4105
	v_exp_f32_e32 v6, v6                                       // 000000007C7C: 7E0C4106
	v_exp_f32_e32 v7, v7                                       // 000000007C80: 7E0E4107
	v_add_f32_e64 v4, v4, 1.0                                  // 000000007C84: D1010004 0001E504
	v_add_f32_e64 v5, v5, 1.0                                  // 000000007C8C: D1010005 0001E505
	v_add_f32_e64 v6, v6, 1.0                                  // 000000007C94: D1010006 0001E506
	v_add_f32_e64 v7, v7, 1.0                                  // 000000007C9C: D1010007 0001E507
	v_rcp_f32_e32 v4, v4                                       // 000000007CA4: 7E084504
	v_rcp_f32_e32 v5, v5                                       // 000000007CA8: 7E0A4505
	v_rcp_f32_e32 v6, v6                                       // 000000007CAC: 7E0C4506
	v_rcp_f32_e32 v7, v7                                       // 000000007CB0: 7E0E4507
	v_mul_f32_e32 v148, v148, v4                               // 000000007CB4: 0B280994
	v_mul_f32_e32 v149, v149, v5                               // 000000007CB8: 0B2A0B95
	v_mul_f32_e32 v150, v150, v6                               // 000000007CBC: 0B2C0D96
	v_mul_f32_e32 v151, v151, v7                               // 000000007CC0: 0B2E0F97
	v_mul_f32_e32 v148, v148, v220                             // 000000007CC4: 0B29B994
	v_mul_f32_e32 v149, v149, v221                             // 000000007CC8: 0B2BBB95
	v_mul_f32_e32 v150, v150, v222                             // 000000007CCC: 0B2DBD96
	v_mul_f32_e32 v151, v151, v223                             // 000000007CD0: 0B2FBF97
	v_mul_f32_e64 v4, -v152, s6                                // 000000007CD4: D1050004 20000D98
	v_mul_f32_e64 v5, -v153, s6                                // 000000007CDC: D1050005 20000D99
	v_mul_f32_e64 v6, -v154, s6                                // 000000007CE4: D1050006 20000D9A
	v_mul_f32_e64 v7, -v155, s6                                // 000000007CEC: D1050007 20000D9B
	v_exp_f32_e32 v4, v4                                       // 000000007CF4: 7E084104
	v_exp_f32_e32 v5, v5                                       // 000000007CF8: 7E0A4105
	v_exp_f32_e32 v6, v6                                       // 000000007CFC: 7E0C4106
	v_exp_f32_e32 v7, v7                                       // 000000007D00: 7E0E4107
	v_add_f32_e64 v4, v4, 1.0                                  // 000000007D04: D1010004 0001E504
	v_add_f32_e64 v5, v5, 1.0                                  // 000000007D0C: D1010005 0001E505
	v_add_f32_e64 v6, v6, 1.0                                  // 000000007D14: D1010006 0001E506
	v_add_f32_e64 v7, v7, 1.0                                  // 000000007D1C: D1010007 0001E507
	v_rcp_f32_e32 v4, v4                                       // 000000007D24: 7E084504
	v_rcp_f32_e32 v5, v5                                       // 000000007D28: 7E0A4505
	v_rcp_f32_e32 v6, v6                                       // 000000007D2C: 7E0C4506
	v_rcp_f32_e32 v7, v7                                       // 000000007D30: 7E0E4507
	v_mul_f32_e32 v152, v152, v4                               // 000000007D34: 0B300998
	v_mul_f32_e32 v153, v153, v5                               // 000000007D38: 0B320B99
	v_mul_f32_e32 v154, v154, v6                               // 000000007D3C: 0B340D9A
	v_mul_f32_e32 v155, v155, v7                               // 000000007D40: 0B360F9B
	v_mul_f32_e32 v152, v152, v224                             // 000000007D44: 0B31C198
	v_mul_f32_e32 v153, v153, v225                             // 000000007D48: 0B33C399
	v_mul_f32_e32 v154, v154, v226                             // 000000007D4C: 0B35C59A
	v_mul_f32_e32 v155, v155, v227                             // 000000007D50: 0B37C79B
	v_mul_f32_e64 v4, -v156, s6                                // 000000007D54: D1050004 20000D9C
	v_mul_f32_e64 v5, -v157, s6                                // 000000007D5C: D1050005 20000D9D
	v_mul_f32_e64 v6, -v158, s6                                // 000000007D64: D1050006 20000D9E
	v_mul_f32_e64 v7, -v159, s6                                // 000000007D6C: D1050007 20000D9F
	v_exp_f32_e32 v4, v4                                       // 000000007D74: 7E084104
	v_exp_f32_e32 v5, v5                                       // 000000007D78: 7E0A4105
	v_exp_f32_e32 v6, v6                                       // 000000007D7C: 7E0C4106
	v_exp_f32_e32 v7, v7                                       // 000000007D80: 7E0E4107
	v_add_f32_e64 v4, v4, 1.0                                  // 000000007D84: D1010004 0001E504
	v_add_f32_e64 v5, v5, 1.0                                  // 000000007D8C: D1010005 0001E505
	v_add_f32_e64 v6, v6, 1.0                                  // 000000007D94: D1010006 0001E506
	v_add_f32_e64 v7, v7, 1.0                                  // 000000007D9C: D1010007 0001E507
	v_rcp_f32_e32 v4, v4                                       // 000000007DA4: 7E084504
	v_rcp_f32_e32 v5, v5                                       // 000000007DA8: 7E0A4505
	v_rcp_f32_e32 v6, v6                                       // 000000007DAC: 7E0C4506
	v_rcp_f32_e32 v7, v7                                       // 000000007DB0: 7E0E4507
	v_mul_f32_e32 v156, v156, v4                               // 000000007DB4: 0B38099C
	v_mul_f32_e32 v157, v157, v5                               // 000000007DB8: 0B3A0B9D
	v_mul_f32_e32 v158, v158, v6                               // 000000007DBC: 0B3C0D9E
	v_mul_f32_e32 v159, v159, v7                               // 000000007DC0: 0B3E0F9F
	v_mul_f32_e32 v156, v156, v228                             // 000000007DC4: 0B39C99C
	v_mul_f32_e32 v157, v157, v229                             // 000000007DC8: 0B3BCB9D
	v_mul_f32_e32 v158, v158, v230                             // 000000007DCC: 0B3DCD9E
	v_mul_f32_e32 v159, v159, v231                             // 000000007DD0: 0B3FCF9F

0000000000007dd4 <label_14F5>:
	v_cmp_u_f32_e64 s[46:47], v88, v88                         // 000000007DD4: D048002E 0002B158
	v_add3_u32 v16, v88, v19, 1                                // 000000007DDC: D1FF0010 02062758
	v_cndmask_b32_e64 v4, v16, v18, s[46:47]                   // 000000007DE4: D1000004 00BA2510
	v_cmp_u_f32_e64 s[46:47], v89, v89                         // 000000007DEC: D048002E 0002B359
	v_add3_u32 v16, v89, v19, 1                                // 000000007DF4: D1FF0010 02062759
	v_cndmask_b32_e64 v5, v16, v18, s[46:47]                   // 000000007DFC: D1000005 00BA2510
	v_perm_b32 v88, v5, v4, s52                                // 000000007E04: D1ED0058 00D20905
	v_cmp_u_f32_e64 s[46:47], v90, v90                         // 000000007E0C: D048002E 0002B55A
	v_add3_u32 v16, v90, v19, 1                                // 000000007E14: D1FF0010 0206275A
	v_cndmask_b32_e64 v4, v16, v18, s[46:47]                   // 000000007E1C: D1000004 00BA2510
	v_cmp_u_f32_e64 s[46:47], v91, v91                         // 000000007E24: D048002E 0002B75B
	v_add3_u32 v16, v91, v19, 1                                // 000000007E2C: D1FF0010 0206275B
	v_cndmask_b32_e64 v5, v16, v18, s[46:47]                   // 000000007E34: D1000005 00BA2510
	v_perm_b32 v89, v5, v4, s52                                // 000000007E3C: D1ED0059 00D20905
	v_cmp_u_f32_e64 s[46:47], v92, v92                         // 000000007E44: D048002E 0002B95C
	v_add3_u32 v16, v92, v19, 1                                // 000000007E4C: D1FF0010 0206275C
	v_cndmask_b32_e64 v4, v16, v18, s[46:47]                   // 000000007E54: D1000004 00BA2510
	v_cmp_u_f32_e64 s[46:47], v93, v93                         // 000000007E5C: D048002E 0002BB5D
	v_add3_u32 v16, v93, v19, 1                                // 000000007E64: D1FF0010 0206275D
	v_cndmask_b32_e64 v5, v16, v18, s[46:47]                   // 000000007E6C: D1000005 00BA2510
	v_perm_b32 v90, v5, v4, s52                                // 000000007E74: D1ED005A 00D20905
	v_cmp_u_f32_e64 s[46:47], v94, v94                         // 000000007E7C: D048002E 0002BD5E
	v_add3_u32 v16, v94, v19, 1                                // 000000007E84: D1FF0010 0206275E
	v_cndmask_b32_e64 v4, v16, v18, s[46:47]                   // 000000007E8C: D1000004 00BA2510
	v_cmp_u_f32_e64 s[46:47], v95, v95                         // 000000007E94: D048002E 0002BF5F
	v_add3_u32 v16, v95, v19, 1                                // 000000007E9C: D1FF0010 0206275F
	v_cndmask_b32_e64 v5, v16, v18, s[46:47]                   // 000000007EA4: D1000005 00BA2510
	v_perm_b32 v91, v5, v4, s52                                // 000000007EAC: D1ED005B 00D20905
	v_cmp_u_f32_e64 s[46:47], v96, v96                         // 000000007EB4: D048002E 0002C160
	v_add3_u32 v16, v96, v19, 1                                // 000000007EBC: D1FF0010 02062760
	v_cndmask_b32_e64 v4, v16, v18, s[46:47]                   // 000000007EC4: D1000004 00BA2510
	v_cmp_u_f32_e64 s[46:47], v97, v97                         // 000000007ECC: D048002E 0002C361
	v_add3_u32 v16, v97, v19, 1                                // 000000007ED4: D1FF0010 02062761
	v_cndmask_b32_e64 v5, v16, v18, s[46:47]                   // 000000007EDC: D1000005 00BA2510
	v_perm_b32 v92, v5, v4, s52                                // 000000007EE4: D1ED005C 00D20905
	v_cmp_u_f32_e64 s[46:47], v98, v98                         // 000000007EEC: D048002E 0002C562
	v_add3_u32 v16, v98, v19, 1                                // 000000007EF4: D1FF0010 02062762
	v_cndmask_b32_e64 v4, v16, v18, s[46:47]                   // 000000007EFC: D1000004 00BA2510
	v_cmp_u_f32_e64 s[46:47], v99, v99                         // 000000007F04: D048002E 0002C763
	v_add3_u32 v16, v99, v19, 1                                // 000000007F0C: D1FF0010 02062763
	v_cndmask_b32_e64 v5, v16, v18, s[46:47]                   // 000000007F14: D1000005 00BA2510
	v_perm_b32 v93, v5, v4, s52                                // 000000007F1C: D1ED005D 00D20905
	v_cmp_u_f32_e64 s[46:47], v100, v100                       // 000000007F24: D048002E 0002C964
	v_add3_u32 v16, v100, v19, 1                               // 000000007F2C: D1FF0010 02062764
	v_cndmask_b32_e64 v4, v16, v18, s[46:47]                   // 000000007F34: D1000004 00BA2510
	v_cmp_u_f32_e64 s[46:47], v101, v101                       // 000000007F3C: D048002E 0002CB65
	v_add3_u32 v16, v101, v19, 1                               // 000000007F44: D1FF0010 02062765
	v_cndmask_b32_e64 v5, v16, v18, s[46:47]                   // 000000007F4C: D1000005 00BA2510
	v_perm_b32 v94, v5, v4, s52                                // 000000007F54: D1ED005E 00D20905
	v_cmp_u_f32_e64 s[46:47], v102, v102                       // 000000007F5C: D048002E 0002CD66
	v_add3_u32 v16, v102, v19, 1                               // 000000007F64: D1FF0010 02062766
	v_cndmask_b32_e64 v4, v16, v18, s[46:47]                   // 000000007F6C: D1000004 00BA2510
	v_cmp_u_f32_e64 s[46:47], v103, v103                       // 000000007F74: D048002E 0002CF67
	v_add3_u32 v16, v103, v19, 1                               // 000000007F7C: D1FF0010 02062767
	v_cndmask_b32_e64 v5, v16, v18, s[46:47]                   // 000000007F84: D1000005 00BA2510
	v_perm_b32 v95, v5, v4, s52                                // 000000007F8C: D1ED005F 00D20905
	v_cmp_u_f32_e64 s[46:47], v104, v104                       // 000000007F94: D048002E 0002D168
	v_add3_u32 v16, v104, v19, 1                               // 000000007F9C: D1FF0010 02062768
	v_cndmask_b32_e64 v4, v16, v18, s[46:47]                   // 000000007FA4: D1000004 00BA2510
	v_cmp_u_f32_e64 s[46:47], v105, v105                       // 000000007FAC: D048002E 0002D369
	v_add3_u32 v16, v105, v19, 1                               // 000000007FB4: D1FF0010 02062769
	v_cndmask_b32_e64 v5, v16, v18, s[46:47]                   // 000000007FBC: D1000005 00BA2510
	v_perm_b32 v96, v5, v4, s52                                // 000000007FC4: D1ED0060 00D20905
	v_cmp_u_f32_e64 s[46:47], v106, v106                       // 000000007FCC: D048002E 0002D56A
	v_add3_u32 v16, v106, v19, 1                               // 000000007FD4: D1FF0010 0206276A
	v_cndmask_b32_e64 v4, v16, v18, s[46:47]                   // 000000007FDC: D1000004 00BA2510
	v_cmp_u_f32_e64 s[46:47], v107, v107                       // 000000007FE4: D048002E 0002D76B
	v_add3_u32 v16, v107, v19, 1                               // 000000007FEC: D1FF0010 0206276B
	v_cndmask_b32_e64 v5, v16, v18, s[46:47]                   // 000000007FF4: D1000005 00BA2510
	v_perm_b32 v97, v5, v4, s52                                // 000000007FFC: D1ED0061 00D20905
	v_cmp_u_f32_e64 s[46:47], v108, v108                       // 000000008004: D048002E 0002D96C
	v_add3_u32 v16, v108, v19, 1                               // 00000000800C: D1FF0010 0206276C
	v_cndmask_b32_e64 v4, v16, v18, s[46:47]                   // 000000008014: D1000004 00BA2510
	v_cmp_u_f32_e64 s[46:47], v109, v109                       // 00000000801C: D048002E 0002DB6D
	v_add3_u32 v16, v109, v19, 1                               // 000000008024: D1FF0010 0206276D
	v_cndmask_b32_e64 v5, v16, v18, s[46:47]                   // 00000000802C: D1000005 00BA2510
	v_perm_b32 v98, v5, v4, s52                                // 000000008034: D1ED0062 00D20905
	v_cmp_u_f32_e64 s[46:47], v110, v110                       // 00000000803C: D048002E 0002DD6E
	v_add3_u32 v16, v110, v19, 1                               // 000000008044: D1FF0010 0206276E
	v_cndmask_b32_e64 v4, v16, v18, s[46:47]                   // 00000000804C: D1000004 00BA2510
	v_cmp_u_f32_e64 s[46:47], v111, v111                       // 000000008054: D048002E 0002DF6F
	v_add3_u32 v16, v111, v19, 1                               // 00000000805C: D1FF0010 0206276F
	v_cndmask_b32_e64 v5, v16, v18, s[46:47]                   // 000000008064: D1000005 00BA2510
	v_perm_b32 v99, v5, v4, s52                                // 00000000806C: D1ED0063 00D20905
	v_cmp_u_f32_e64 s[46:47], v112, v112                       // 000000008074: D048002E 0002E170
	v_add3_u32 v16, v112, v19, 1                               // 00000000807C: D1FF0010 02062770
	v_cndmask_b32_e64 v4, v16, v18, s[46:47]                   // 000000008084: D1000004 00BA2510
	v_cmp_u_f32_e64 s[46:47], v113, v113                       // 00000000808C: D048002E 0002E371
	v_add3_u32 v16, v113, v19, 1                               // 000000008094: D1FF0010 02062771
	v_cndmask_b32_e64 v5, v16, v18, s[46:47]                   // 00000000809C: D1000005 00BA2510
	v_perm_b32 v100, v5, v4, s52                               // 0000000080A4: D1ED0064 00D20905
	v_cmp_u_f32_e64 s[46:47], v114, v114                       // 0000000080AC: D048002E 0002E572
	v_add3_u32 v16, v114, v19, 1                               // 0000000080B4: D1FF0010 02062772
	v_cndmask_b32_e64 v4, v16, v18, s[46:47]                   // 0000000080BC: D1000004 00BA2510
	v_cmp_u_f32_e64 s[46:47], v115, v115                       // 0000000080C4: D048002E 0002E773
	v_add3_u32 v16, v115, v19, 1                               // 0000000080CC: D1FF0010 02062773
	v_cndmask_b32_e64 v5, v16, v18, s[46:47]                   // 0000000080D4: D1000005 00BA2510
	v_perm_b32 v101, v5, v4, s52                               // 0000000080DC: D1ED0065 00D20905
	v_cmp_u_f32_e64 s[46:47], v116, v116                       // 0000000080E4: D048002E 0002E974
	v_add3_u32 v16, v116, v19, 1                               // 0000000080EC: D1FF0010 02062774
	v_cndmask_b32_e64 v4, v16, v18, s[46:47]                   // 0000000080F4: D1000004 00BA2510
	v_cmp_u_f32_e64 s[46:47], v117, v117                       // 0000000080FC: D048002E 0002EB75
	v_add3_u32 v16, v117, v19, 1                               // 000000008104: D1FF0010 02062775
	v_cndmask_b32_e64 v5, v16, v18, s[46:47]                   // 00000000810C: D1000005 00BA2510
	v_perm_b32 v102, v5, v4, s52                               // 000000008114: D1ED0066 00D20905
	v_cmp_u_f32_e64 s[46:47], v118, v118                       // 00000000811C: D048002E 0002ED76
	v_add3_u32 v16, v118, v19, 1                               // 000000008124: D1FF0010 02062776
	v_cndmask_b32_e64 v4, v16, v18, s[46:47]                   // 00000000812C: D1000004 00BA2510
	v_cmp_u_f32_e64 s[46:47], v119, v119                       // 000000008134: D048002E 0002EF77
	v_add3_u32 v16, v119, v19, 1                               // 00000000813C: D1FF0010 02062777
	v_cndmask_b32_e64 v5, v16, v18, s[46:47]                   // 000000008144: D1000005 00BA2510
	v_perm_b32 v103, v5, v4, s52                               // 00000000814C: D1ED0067 00D20905
	v_cmp_u_f32_e64 s[46:47], v120, v120                       // 000000008154: D048002E 0002F178
	v_add3_u32 v16, v120, v19, 1                               // 00000000815C: D1FF0010 02062778
	v_cndmask_b32_e64 v4, v16, v18, s[46:47]                   // 000000008164: D1000004 00BA2510
	v_cmp_u_f32_e64 s[46:47], v121, v121                       // 00000000816C: D048002E 0002F379
	v_add3_u32 v16, v121, v19, 1                               // 000000008174: D1FF0010 02062779
	v_cndmask_b32_e64 v5, v16, v18, s[46:47]                   // 00000000817C: D1000005 00BA2510
	v_perm_b32 v104, v5, v4, s52                               // 000000008184: D1ED0068 00D20905
	v_cmp_u_f32_e64 s[46:47], v122, v122                       // 00000000818C: D048002E 0002F57A
	v_add3_u32 v16, v122, v19, 1                               // 000000008194: D1FF0010 0206277A
	v_cndmask_b32_e64 v4, v16, v18, s[46:47]                   // 00000000819C: D1000004 00BA2510
	v_cmp_u_f32_e64 s[46:47], v123, v123                       // 0000000081A4: D048002E 0002F77B
	v_add3_u32 v16, v123, v19, 1                               // 0000000081AC: D1FF0010 0206277B
	v_cndmask_b32_e64 v5, v16, v18, s[46:47]                   // 0000000081B4: D1000005 00BA2510
	v_perm_b32 v105, v5, v4, s52                               // 0000000081BC: D1ED0069 00D20905
	v_cmp_u_f32_e64 s[46:47], v124, v124                       // 0000000081C4: D048002E 0002F97C
	v_add3_u32 v16, v124, v19, 1                               // 0000000081CC: D1FF0010 0206277C
	v_cndmask_b32_e64 v4, v16, v18, s[46:47]                   // 0000000081D4: D1000004 00BA2510
	v_cmp_u_f32_e64 s[46:47], v125, v125                       // 0000000081DC: D048002E 0002FB7D
	v_add3_u32 v16, v125, v19, 1                               // 0000000081E4: D1FF0010 0206277D
	v_cndmask_b32_e64 v5, v16, v18, s[46:47]                   // 0000000081EC: D1000005 00BA2510
	v_perm_b32 v106, v5, v4, s52                               // 0000000081F4: D1ED006A 00D20905
	v_cmp_u_f32_e64 s[46:47], v126, v126                       // 0000000081FC: D048002E 0002FD7E
	v_add3_u32 v16, v126, v19, 1                               // 000000008204: D1FF0010 0206277E
	v_cndmask_b32_e64 v4, v16, v18, s[46:47]                   // 00000000820C: D1000004 00BA2510
	v_cmp_u_f32_e64 s[46:47], v127, v127                       // 000000008214: D048002E 0002FF7F
	v_add3_u32 v16, v127, v19, 1                               // 00000000821C: D1FF0010 0206277F
	v_cndmask_b32_e64 v5, v16, v18, s[46:47]                   // 000000008224: D1000005 00BA2510
	v_perm_b32 v107, v5, v4, s52                               // 00000000822C: D1ED006B 00D20905
	v_cmp_u_f32_e64 s[46:47], v128, v128                       // 000000008234: D048002E 00030180
	v_add3_u32 v16, v128, v19, 1                               // 00000000823C: D1FF0010 02062780
	v_cndmask_b32_e64 v4, v16, v18, s[46:47]                   // 000000008244: D1000004 00BA2510
	v_cmp_u_f32_e64 s[46:47], v129, v129                       // 00000000824C: D048002E 00030381
	v_add3_u32 v16, v129, v19, 1                               // 000000008254: D1FF0010 02062781
	v_cndmask_b32_e64 v5, v16, v18, s[46:47]                   // 00000000825C: D1000005 00BA2510
	v_perm_b32 v108, v5, v4, s52                               // 000000008264: D1ED006C 00D20905
	v_cmp_u_f32_e64 s[46:47], v130, v130                       // 00000000826C: D048002E 00030582
	v_add3_u32 v16, v130, v19, 1                               // 000000008274: D1FF0010 02062782
	v_cndmask_b32_e64 v4, v16, v18, s[46:47]                   // 00000000827C: D1000004 00BA2510
	v_cmp_u_f32_e64 s[46:47], v131, v131                       // 000000008284: D048002E 00030783
	v_add3_u32 v16, v131, v19, 1                               // 00000000828C: D1FF0010 02062783
	v_cndmask_b32_e64 v5, v16, v18, s[46:47]                   // 000000008294: D1000005 00BA2510
	v_perm_b32 v109, v5, v4, s52                               // 00000000829C: D1ED006D 00D20905
	v_cmp_u_f32_e64 s[46:47], v132, v132                       // 0000000082A4: D048002E 00030984
	v_add3_u32 v16, v132, v19, 1                               // 0000000082AC: D1FF0010 02062784
	v_cndmask_b32_e64 v4, v16, v18, s[46:47]                   // 0000000082B4: D1000004 00BA2510
	v_cmp_u_f32_e64 s[46:47], v133, v133                       // 0000000082BC: D048002E 00030B85
	v_add3_u32 v16, v133, v19, 1                               // 0000000082C4: D1FF0010 02062785
	v_cndmask_b32_e64 v5, v16, v18, s[46:47]                   // 0000000082CC: D1000005 00BA2510
	v_perm_b32 v110, v5, v4, s52                               // 0000000082D4: D1ED006E 00D20905
	v_cmp_u_f32_e64 s[46:47], v134, v134                       // 0000000082DC: D048002E 00030D86
	v_add3_u32 v16, v134, v19, 1                               // 0000000082E4: D1FF0010 02062786
	v_cndmask_b32_e64 v4, v16, v18, s[46:47]                   // 0000000082EC: D1000004 00BA2510
	v_cmp_u_f32_e64 s[46:47], v135, v135                       // 0000000082F4: D048002E 00030F87
	v_add3_u32 v16, v135, v19, 1                               // 0000000082FC: D1FF0010 02062787
	v_cndmask_b32_e64 v5, v16, v18, s[46:47]                   // 000000008304: D1000005 00BA2510
	v_perm_b32 v111, v5, v4, s52                               // 00000000830C: D1ED006F 00D20905
	v_cmp_u_f32_e64 s[46:47], v136, v136                       // 000000008314: D048002E 00031188
	v_add3_u32 v16, v136, v19, 1                               // 00000000831C: D1FF0010 02062788
	v_cndmask_b32_e64 v4, v16, v18, s[46:47]                   // 000000008324: D1000004 00BA2510
	v_cmp_u_f32_e64 s[46:47], v137, v137                       // 00000000832C: D048002E 00031389
	v_add3_u32 v16, v137, v19, 1                               // 000000008334: D1FF0010 02062789
	v_cndmask_b32_e64 v5, v16, v18, s[46:47]                   // 00000000833C: D1000005 00BA2510
	v_perm_b32 v112, v5, v4, s52                               // 000000008344: D1ED0070 00D20905
	v_cmp_u_f32_e64 s[46:47], v138, v138                       // 00000000834C: D048002E 0003158A
	v_add3_u32 v16, v138, v19, 1                               // 000000008354: D1FF0010 0206278A
	v_cndmask_b32_e64 v4, v16, v18, s[46:47]                   // 00000000835C: D1000004 00BA2510
	v_cmp_u_f32_e64 s[46:47], v139, v139                       // 000000008364: D048002E 0003178B
	v_add3_u32 v16, v139, v19, 1                               // 00000000836C: D1FF0010 0206278B
	v_cndmask_b32_e64 v5, v16, v18, s[46:47]                   // 000000008374: D1000005 00BA2510
	v_perm_b32 v113, v5, v4, s52                               // 00000000837C: D1ED0071 00D20905
	v_cmp_u_f32_e64 s[46:47], v140, v140                       // 000000008384: D048002E 0003198C
	v_add3_u32 v16, v140, v19, 1                               // 00000000838C: D1FF0010 0206278C
	v_cndmask_b32_e64 v4, v16, v18, s[46:47]                   // 000000008394: D1000004 00BA2510
	v_cmp_u_f32_e64 s[46:47], v141, v141                       // 00000000839C: D048002E 00031B8D
	v_add3_u32 v16, v141, v19, 1                               // 0000000083A4: D1FF0010 0206278D
	v_cndmask_b32_e64 v5, v16, v18, s[46:47]                   // 0000000083AC: D1000005 00BA2510
	v_perm_b32 v114, v5, v4, s52                               // 0000000083B4: D1ED0072 00D20905
	v_cmp_u_f32_e64 s[46:47], v142, v142                       // 0000000083BC: D048002E 00031D8E
	v_add3_u32 v16, v142, v19, 1                               // 0000000083C4: D1FF0010 0206278E
	v_cndmask_b32_e64 v4, v16, v18, s[46:47]                   // 0000000083CC: D1000004 00BA2510
	v_cmp_u_f32_e64 s[46:47], v143, v143                       // 0000000083D4: D048002E 00031F8F
	v_add3_u32 v16, v143, v19, 1                               // 0000000083DC: D1FF0010 0206278F
	v_cndmask_b32_e64 v5, v16, v18, s[46:47]                   // 0000000083E4: D1000005 00BA2510
	v_perm_b32 v115, v5, v4, s52                               // 0000000083EC: D1ED0073 00D20905
	v_cmp_u_f32_e64 s[46:47], v144, v144                       // 0000000083F4: D048002E 00032190
	v_add3_u32 v16, v144, v19, 1                               // 0000000083FC: D1FF0010 02062790
	v_cndmask_b32_e64 v4, v16, v18, s[46:47]                   // 000000008404: D1000004 00BA2510
	v_cmp_u_f32_e64 s[46:47], v145, v145                       // 00000000840C: D048002E 00032391
	v_add3_u32 v16, v145, v19, 1                               // 000000008414: D1FF0010 02062791
	v_cndmask_b32_e64 v5, v16, v18, s[46:47]                   // 00000000841C: D1000005 00BA2510
	v_perm_b32 v116, v5, v4, s52                               // 000000008424: D1ED0074 00D20905
	v_cmp_u_f32_e64 s[46:47], v146, v146                       // 00000000842C: D048002E 00032592
	v_add3_u32 v16, v146, v19, 1                               // 000000008434: D1FF0010 02062792
	v_cndmask_b32_e64 v4, v16, v18, s[46:47]                   // 00000000843C: D1000004 00BA2510
	v_cmp_u_f32_e64 s[46:47], v147, v147                       // 000000008444: D048002E 00032793
	v_add3_u32 v16, v147, v19, 1                               // 00000000844C: D1FF0010 02062793
	v_cndmask_b32_e64 v5, v16, v18, s[46:47]                   // 000000008454: D1000005 00BA2510
	v_perm_b32 v117, v5, v4, s52                               // 00000000845C: D1ED0075 00D20905
	v_cmp_u_f32_e64 s[46:47], v148, v148                       // 000000008464: D048002E 00032994
	v_add3_u32 v16, v148, v19, 1                               // 00000000846C: D1FF0010 02062794
	v_cndmask_b32_e64 v4, v16, v18, s[46:47]                   // 000000008474: D1000004 00BA2510
	v_cmp_u_f32_e64 s[46:47], v149, v149                       // 00000000847C: D048002E 00032B95
	v_add3_u32 v16, v149, v19, 1                               // 000000008484: D1FF0010 02062795
	v_cndmask_b32_e64 v5, v16, v18, s[46:47]                   // 00000000848C: D1000005 00BA2510
	v_perm_b32 v118, v5, v4, s52                               // 000000008494: D1ED0076 00D20905
	v_cmp_u_f32_e64 s[46:47], v150, v150                       // 00000000849C: D048002E 00032D96
	v_add3_u32 v16, v150, v19, 1                               // 0000000084A4: D1FF0010 02062796
	v_cndmask_b32_e64 v4, v16, v18, s[46:47]                   // 0000000084AC: D1000004 00BA2510
	v_cmp_u_f32_e64 s[46:47], v151, v151                       // 0000000084B4: D048002E 00032F97
	v_add3_u32 v16, v151, v19, 1                               // 0000000084BC: D1FF0010 02062797
	v_cndmask_b32_e64 v5, v16, v18, s[46:47]                   // 0000000084C4: D1000005 00BA2510
	v_perm_b32 v119, v5, v4, s52                               // 0000000084CC: D1ED0077 00D20905
	v_cmp_u_f32_e64 s[46:47], v152, v152                       // 0000000084D4: D048002E 00033198
	v_add3_u32 v16, v152, v19, 1                               // 0000000084DC: D1FF0010 02062798
	v_cndmask_b32_e64 v4, v16, v18, s[46:47]                   // 0000000084E4: D1000004 00BA2510
	v_cmp_u_f32_e64 s[46:47], v153, v153                       // 0000000084EC: D048002E 00033399
	v_add3_u32 v16, v153, v19, 1                               // 0000000084F4: D1FF0010 02062799
	v_cndmask_b32_e64 v5, v16, v18, s[46:47]                   // 0000000084FC: D1000005 00BA2510
	v_perm_b32 v120, v5, v4, s52                               // 000000008504: D1ED0078 00D20905
	v_cmp_u_f32_e64 s[46:47], v154, v154                       // 00000000850C: D048002E 0003359A
	v_add3_u32 v16, v154, v19, 1                               // 000000008514: D1FF0010 0206279A
	v_cndmask_b32_e64 v4, v16, v18, s[46:47]                   // 00000000851C: D1000004 00BA2510
	v_cmp_u_f32_e64 s[46:47], v155, v155                       // 000000008524: D048002E 0003379B
	v_add3_u32 v16, v155, v19, 1                               // 00000000852C: D1FF0010 0206279B
	v_cndmask_b32_e64 v5, v16, v18, s[46:47]                   // 000000008534: D1000005 00BA2510
	v_perm_b32 v121, v5, v4, s52                               // 00000000853C: D1ED0079 00D20905
	v_cmp_u_f32_e64 s[46:47], v156, v156                       // 000000008544: D048002E 0003399C
	v_add3_u32 v16, v156, v19, 1                               // 00000000854C: D1FF0010 0206279C
	v_cndmask_b32_e64 v4, v16, v18, s[46:47]                   // 000000008554: D1000004 00BA2510
	v_cmp_u_f32_e64 s[46:47], v157, v157                       // 00000000855C: D048002E 00033B9D
	v_add3_u32 v16, v157, v19, 1                               // 000000008564: D1FF0010 0206279D
	v_cndmask_b32_e64 v5, v16, v18, s[46:47]                   // 00000000856C: D1000005 00BA2510
	v_perm_b32 v122, v5, v4, s52                               // 000000008574: D1ED007A 00D20905
	v_cmp_u_f32_e64 s[46:47], v158, v158                       // 00000000857C: D048002E 00033D9E
	v_add3_u32 v16, v158, v19, 1                               // 000000008584: D1FF0010 0206279E
	v_cndmask_b32_e64 v4, v16, v18, s[46:47]                   // 00000000858C: D1000004 00BA2510
	v_cmp_u_f32_e64 s[46:47], v159, v159                       // 000000008594: D048002E 00033F9F
	v_add3_u32 v16, v159, v19, 1                               // 00000000859C: D1FF0010 0206279F
	v_cndmask_b32_e64 v5, v16, v18, s[46:47]                   // 0000000085A4: D1000005 00BA2510
	v_perm_b32 v123, v5, v4, s52                               // 0000000085AC: D1ED007B 00D20905
	ds_write_b64 v20, v[88:89]                                 // 0000000085B4: D89A0000 00005814
	ds_write_b64 v20, v[90:91] offset:4352                     // 0000000085BC: D89A1100 00005A14
	ds_write_b64 v20, v[92:93] offset:8704                     // 0000000085C4: D89A2200 00005C14
	ds_write_b64 v20, v[94:95] offset:13056                    // 0000000085CC: D89A3300 00005E14
	ds_write_b64 v20, v[96:97] offset:17408                    // 0000000085D4: D89A4400 00006014
	ds_write_b64 v20, v[98:99] offset:21760                    // 0000000085DC: D89A5500 00006214
	ds_write_b64 v20, v[100:101] offset:26112                  // 0000000085E4: D89A6600 00006414
	ds_write_b64 v20, v[102:103] offset:30464                  // 0000000085EC: D89A7700 00006614
	ds_write_b64 v20, v[104:105] offset:34816                  // 0000000085F4: D89A8800 00006814
	ds_write_b64 v20, v[106:107] offset:2176                   // 0000000085FC: D89A0880 00006A14
	ds_write_b64 v20, v[108:109] offset:6528                   // 000000008604: D89A1980 00006C14
	ds_write_b64 v20, v[110:111] offset:10880                  // 00000000860C: D89A2A80 00006E14
	ds_write_b64 v20, v[112:113] offset:15232                  // 000000008614: D89A3B80 00007014
	ds_write_b64 v20, v[114:115] offset:19584                  // 00000000861C: D89A4C80 00007214
	ds_write_b64 v20, v[116:117] offset:23936                  // 000000008624: D89A5D80 00007414
	ds_write_b64 v20, v[118:119] offset:28288                  // 00000000862C: D89A6E80 00007614
	ds_write_b64 v20, v[120:121] offset:32640                  // 000000008634: D89A7F80 00007814
	ds_write_b64 v20, v[122:123] offset:36992                  // 00000000863C: D89A9080 00007A14
	v_lshrrev_b32_e32 v4, 5, v0                                // 000000008644: 20080085
	v_xor_b32_e32 v5, 1, v4                                    // 000000008648: 2A0A0881
	s_mul_i32 s60, s65, 2                                      // 00000000864C: 923C8241
	s_cmp_eq_u32 s88, 0                                        // 000000008650: BF068058
	s_cselect_b32 s61, 1, 4                                    // 000000008654: 853D8481
	s_mul_i32 s60, s61, s60                                    // 000000008658: 923C3C3D
	v_readlane_b32 s82, v3, 0                                  // 00000000865C: D2890052 00010103
	s_lshr_b32 s61, s82, 24                                    // 000000008664: 8F3D9852
	s_and_b32 s82, s82, 0xffffff                               // 000000008668: 8652FF52 00FFFFFF
	s_mul_i32 s82, s82, s71                                    // 000000008670: 92524752
	s_mul_i32 s61, s60, s61                                    // 000000008674: 923D3D3C
	s_add_u32 s82, s82, s61                                    // 000000008678: 80523D52
	v_mul_lo_u32 v6, v5, s82                                   // 00000000867C: D2850006 0000A505
	v_readlane_b32 s82, v3, 1                                  // 000000008684: D2890052 00010303
	s_lshr_b32 s61, s82, 24                                    // 00000000868C: 8F3D9852
	s_and_b32 s82, s82, 0xffffff                               // 000000008690: 8652FF52 00FFFFFF
	s_mul_i32 s82, s82, s71                                    // 000000008698: 92524752
	s_mul_i32 s61, s60, s61                                    // 00000000869C: 923D3D3C
	s_add_u32 s82, s82, s61                                    // 0000000086A0: 80523D52
	v_mul_lo_u32 v7, v4, s82                                   // 0000000086A4: D2850007 0000A504
	v_add_u32_e32 v66, v6, v7                                  // 0000000086AC: 68840F06
	v_readlane_b32 s82, v3, 2                                  // 0000000086B0: D2890052 00010503
	s_lshr_b32 s61, s82, 24                                    // 0000000086B8: 8F3D9852
	s_and_b32 s82, s82, 0xffffff                               // 0000000086BC: 8652FF52 00FFFFFF
	s_mul_i32 s82, s82, s71                                    // 0000000086C4: 92524752
	s_mul_i32 s61, s60, s61                                    // 0000000086C8: 923D3D3C
	s_add_u32 s82, s82, s61                                    // 0000000086CC: 80523D52
	v_mul_lo_u32 v6, v5, s82                                   // 0000000086D0: D2850006 0000A505
	v_readlane_b32 s82, v3, 3                                  // 0000000086D8: D2890052 00010703
	s_lshr_b32 s61, s82, 24                                    // 0000000086E0: 8F3D9852
	s_and_b32 s82, s82, 0xffffff                               // 0000000086E4: 8652FF52 00FFFFFF
	s_mul_i32 s82, s82, s71                                    // 0000000086EC: 92524752
	s_mul_i32 s61, s60, s61                                    // 0000000086F0: 923D3D3C
	s_add_u32 s82, s82, s61                                    // 0000000086F4: 80523D52
	v_mul_lo_u32 v7, v4, s82                                   // 0000000086F8: D2850007 0000A504
	v_add_u32_e32 v67, v6, v7                                  // 000000008700: 68860F06
	v_readlane_b32 s82, v3, 4                                  // 000000008704: D2890052 00010903
	s_lshr_b32 s61, s82, 24                                    // 00000000870C: 8F3D9852
	s_and_b32 s82, s82, 0xffffff                               // 000000008710: 8652FF52 00FFFFFF
	s_mul_i32 s82, s82, s71                                    // 000000008718: 92524752
	s_mul_i32 s61, s60, s61                                    // 00000000871C: 923D3D3C
	s_add_u32 s82, s82, s61                                    // 000000008720: 80523D52
	v_mul_lo_u32 v6, v5, s82                                   // 000000008724: D2850006 0000A505
	v_readlane_b32 s82, v3, 5                                  // 00000000872C: D2890052 00010B03
	s_lshr_b32 s61, s82, 24                                    // 000000008734: 8F3D9852
	s_and_b32 s82, s82, 0xffffff                               // 000000008738: 8652FF52 00FFFFFF
	s_mul_i32 s82, s82, s71                                    // 000000008740: 92524752
	s_mul_i32 s61, s60, s61                                    // 000000008744: 923D3D3C
	s_add_u32 s82, s82, s61                                    // 000000008748: 80523D52
	v_mul_lo_u32 v7, v4, s82                                   // 00000000874C: D2850007 0000A504
	v_add_u32_e32 v68, v6, v7                                  // 000000008754: 68880F06
	v_readlane_b32 s82, v3, 6                                  // 000000008758: D2890052 00010D03
	s_lshr_b32 s61, s82, 24                                    // 000000008760: 8F3D9852
	s_and_b32 s82, s82, 0xffffff                               // 000000008764: 8652FF52 00FFFFFF
	s_mul_i32 s82, s82, s71                                    // 00000000876C: 92524752
	s_mul_i32 s61, s60, s61                                    // 000000008770: 923D3D3C
	s_add_u32 s82, s82, s61                                    // 000000008774: 80523D52
	v_mul_lo_u32 v6, v5, s82                                   // 000000008778: D2850006 0000A505
	v_readlane_b32 s82, v3, 7                                  // 000000008780: D2890052 00010F03
	s_lshr_b32 s61, s82, 24                                    // 000000008788: 8F3D9852
	s_and_b32 s82, s82, 0xffffff                               // 00000000878C: 8652FF52 00FFFFFF
	s_mul_i32 s82, s82, s71                                    // 000000008794: 92524752
	s_mul_i32 s61, s60, s61                                    // 000000008798: 923D3D3C
	s_add_u32 s82, s82, s61                                    // 00000000879C: 80523D52
	v_mul_lo_u32 v7, v4, s82                                   // 0000000087A0: D2850007 0000A504
	v_add_u32_e32 v69, v6, v7                                  // 0000000087A8: 688A0F06
	v_readlane_b32 s82, v3, 8                                  // 0000000087AC: D2890052 00011103
	s_lshr_b32 s61, s82, 24                                    // 0000000087B4: 8F3D9852
	s_and_b32 s82, s82, 0xffffff                               // 0000000087B8: 8652FF52 00FFFFFF
	s_mul_i32 s82, s82, s71                                    // 0000000087C0: 92524752
	s_mul_i32 s61, s60, s61                                    // 0000000087C4: 923D3D3C
	s_add_u32 s82, s82, s61                                    // 0000000087C8: 80523D52
	v_mul_lo_u32 v6, v5, s82                                   // 0000000087CC: D2850006 0000A505
	v_readlane_b32 s82, v3, 9                                  // 0000000087D4: D2890052 00011303
	s_lshr_b32 s61, s82, 24                                    // 0000000087DC: 8F3D9852
	s_and_b32 s82, s82, 0xffffff                               // 0000000087E0: 8652FF52 00FFFFFF
	s_mul_i32 s82, s82, s71                                    // 0000000087E8: 92524752
	s_mul_i32 s61, s60, s61                                    // 0000000087EC: 923D3D3C
	s_add_u32 s82, s82, s61                                    // 0000000087F0: 80523D52
	v_mul_lo_u32 v7, v4, s82                                   // 0000000087F4: D2850007 0000A504
	v_add_u32_e32 v70, v6, v7                                  // 0000000087FC: 688C0F06
	v_readlane_b32 s82, v3, 10                                 // 000000008800: D2890052 00011503
	s_lshr_b32 s61, s82, 24                                    // 000000008808: 8F3D9852
	s_and_b32 s82, s82, 0xffffff                               // 00000000880C: 8652FF52 00FFFFFF
	s_mul_i32 s82, s82, s71                                    // 000000008814: 92524752
	s_mul_i32 s61, s60, s61                                    // 000000008818: 923D3D3C
	s_add_u32 s82, s82, s61                                    // 00000000881C: 80523D52
	v_mul_lo_u32 v6, v5, s82                                   // 000000008820: D2850006 0000A505
	v_readlane_b32 s82, v3, 11                                 // 000000008828: D2890052 00011703
	s_lshr_b32 s61, s82, 24                                    // 000000008830: 8F3D9852
	s_and_b32 s82, s82, 0xffffff                               // 000000008834: 8652FF52 00FFFFFF
	s_mul_i32 s82, s82, s71                                    // 00000000883C: 92524752
	s_mul_i32 s61, s60, s61                                    // 000000008840: 923D3D3C
	s_add_u32 s82, s82, s61                                    // 000000008844: 80523D52
	v_mul_lo_u32 v7, v4, s82                                   // 000000008848: D2850007 0000A504
	v_add_u32_e32 v71, v6, v7                                  // 000000008850: 688E0F06
	v_readlane_b32 s82, v3, 12                                 // 000000008854: D2890052 00011903
	s_lshr_b32 s61, s82, 24                                    // 00000000885C: 8F3D9852
	s_and_b32 s82, s82, 0xffffff                               // 000000008860: 8652FF52 00FFFFFF
	s_mul_i32 s82, s82, s71                                    // 000000008868: 92524752
	s_mul_i32 s61, s60, s61                                    // 00000000886C: 923D3D3C
	s_add_u32 s82, s82, s61                                    // 000000008870: 80523D52
	v_mul_lo_u32 v6, v5, s82                                   // 000000008874: D2850006 0000A505
	v_readlane_b32 s82, v3, 13                                 // 00000000887C: D2890052 00011B03
	s_lshr_b32 s61, s82, 24                                    // 000000008884: 8F3D9852
	s_and_b32 s82, s82, 0xffffff                               // 000000008888: 8652FF52 00FFFFFF
	s_mul_i32 s82, s82, s71                                    // 000000008890: 92524752
	s_mul_i32 s61, s60, s61                                    // 000000008894: 923D3D3C
	s_add_u32 s82, s82, s61                                    // 000000008898: 80523D52
	v_mul_lo_u32 v7, v4, s82                                   // 00000000889C: D2850007 0000A504
	v_add_u32_e32 v72, v6, v7                                  // 0000000088A4: 68900F06
	v_readlane_b32 s82, v3, 14                                 // 0000000088A8: D2890052 00011D03
	s_lshr_b32 s61, s82, 24                                    // 0000000088B0: 8F3D9852
	s_and_b32 s82, s82, 0xffffff                               // 0000000088B4: 8652FF52 00FFFFFF
	s_mul_i32 s82, s82, s71                                    // 0000000088BC: 92524752
	s_mul_i32 s61, s60, s61                                    // 0000000088C0: 923D3D3C
	s_add_u32 s82, s82, s61                                    // 0000000088C4: 80523D52
	v_mul_lo_u32 v6, v5, s82                                   // 0000000088C8: D2850006 0000A505
	v_readlane_b32 s82, v3, 15                                 // 0000000088D0: D2890052 00011F03
	s_lshr_b32 s61, s82, 24                                    // 0000000088D8: 8F3D9852
	s_and_b32 s82, s82, 0xffffff                               // 0000000088DC: 8652FF52 00FFFFFF
	s_mul_i32 s82, s82, s71                                    // 0000000088E4: 92524752
	s_mul_i32 s61, s60, s61                                    // 0000000088E8: 923D3D3C
	s_add_u32 s82, s82, s61                                    // 0000000088EC: 80523D52
	v_mul_lo_u32 v7, v4, s82                                   // 0000000088F0: D2850007 0000A504
	v_add_u32_e32 v73, v6, v7                                  // 0000000088F8: 68920F06
	v_readlane_b32 s82, v3, 16                                 // 0000000088FC: D2890052 00012103
	s_lshr_b32 s61, s82, 24                                    // 000000008904: 8F3D9852
	s_and_b32 s82, s82, 0xffffff                               // 000000008908: 8652FF52 00FFFFFF
	s_mul_i32 s82, s82, s71                                    // 000000008910: 92524752
	s_mul_i32 s61, s60, s61                                    // 000000008914: 923D3D3C
	s_add_u32 s82, s82, s61                                    // 000000008918: 80523D52
	v_mul_lo_u32 v6, v5, s82                                   // 00000000891C: D2850006 0000A505
	v_readlane_b32 s82, v3, 17                                 // 000000008924: D2890052 00012303
	s_lshr_b32 s61, s82, 24                                    // 00000000892C: 8F3D9852
	s_and_b32 s82, s82, 0xffffff                               // 000000008930: 8652FF52 00FFFFFF
	s_mul_i32 s82, s82, s71                                    // 000000008938: 92524752
	s_mul_i32 s61, s60, s61                                    // 00000000893C: 923D3D3C
	s_add_u32 s82, s82, s61                                    // 000000008940: 80523D52
	v_mul_lo_u32 v7, v4, s82                                   // 000000008944: D2850007 0000A504
	v_add_u32_e32 v74, v6, v7                                  // 00000000894C: 68940F06
	v_readlane_b32 s82, v3, 18                                 // 000000008950: D2890052 00012503
	s_lshr_b32 s61, s82, 24                                    // 000000008958: 8F3D9852
	s_and_b32 s82, s82, 0xffffff                               // 00000000895C: 8652FF52 00FFFFFF
	s_mul_i32 s82, s82, s71                                    // 000000008964: 92524752
	s_mul_i32 s61, s60, s61                                    // 000000008968: 923D3D3C
	s_add_u32 s82, s82, s61                                    // 00000000896C: 80523D52
	v_mul_lo_u32 v6, v5, s82                                   // 000000008970: D2850006 0000A505
	v_readlane_b32 s82, v3, 19                                 // 000000008978: D2890052 00012703
	s_lshr_b32 s61, s82, 24                                    // 000000008980: 8F3D9852
	s_and_b32 s82, s82, 0xffffff                               // 000000008984: 8652FF52 00FFFFFF
	s_mul_i32 s82, s82, s71                                    // 00000000898C: 92524752
	s_mul_i32 s61, s60, s61                                    // 000000008990: 923D3D3C
	s_add_u32 s82, s82, s61                                    // 000000008994: 80523D52
	v_mul_lo_u32 v7, v4, s82                                   // 000000008998: D2850007 0000A504
	v_add_u32_e32 v75, v6, v7                                  // 0000000089A0: 68960F06
	v_readlane_b32 s82, v3, 20                                 // 0000000089A4: D2890052 00012903
	s_lshr_b32 s61, s82, 24                                    // 0000000089AC: 8F3D9852
	s_and_b32 s82, s82, 0xffffff                               // 0000000089B0: 8652FF52 00FFFFFF
	s_mul_i32 s82, s82, s71                                    // 0000000089B8: 92524752
	s_mul_i32 s61, s60, s61                                    // 0000000089BC: 923D3D3C
	s_add_u32 s82, s82, s61                                    // 0000000089C0: 80523D52
	v_mul_lo_u32 v6, v5, s82                                   // 0000000089C4: D2850006 0000A505
	v_readlane_b32 s82, v3, 21                                 // 0000000089CC: D2890052 00012B03
	s_lshr_b32 s61, s82, 24                                    // 0000000089D4: 8F3D9852
	s_and_b32 s82, s82, 0xffffff                               // 0000000089D8: 8652FF52 00FFFFFF
	s_mul_i32 s82, s82, s71                                    // 0000000089E0: 92524752
	s_mul_i32 s61, s60, s61                                    // 0000000089E4: 923D3D3C
	s_add_u32 s82, s82, s61                                    // 0000000089E8: 80523D52
	v_mul_lo_u32 v7, v4, s82                                   // 0000000089EC: D2850007 0000A504
	v_add_u32_e32 v76, v6, v7                                  // 0000000089F4: 68980F06
	v_readlane_b32 s82, v3, 22                                 // 0000000089F8: D2890052 00012D03
	s_lshr_b32 s61, s82, 24                                    // 000000008A00: 8F3D9852
	s_and_b32 s82, s82, 0xffffff                               // 000000008A04: 8652FF52 00FFFFFF
	s_mul_i32 s82, s82, s71                                    // 000000008A0C: 92524752
	s_mul_i32 s61, s60, s61                                    // 000000008A10: 923D3D3C
	s_add_u32 s82, s82, s61                                    // 000000008A14: 80523D52
	v_mul_lo_u32 v6, v5, s82                                   // 000000008A18: D2850006 0000A505
	v_readlane_b32 s82, v3, 23                                 // 000000008A20: D2890052 00012F03
	s_lshr_b32 s61, s82, 24                                    // 000000008A28: 8F3D9852
	s_and_b32 s82, s82, 0xffffff                               // 000000008A2C: 8652FF52 00FFFFFF
	s_mul_i32 s82, s82, s71                                    // 000000008A34: 92524752
	s_mul_i32 s61, s60, s61                                    // 000000008A38: 923D3D3C
	s_add_u32 s82, s82, s61                                    // 000000008A3C: 80523D52
	v_mul_lo_u32 v7, v4, s82                                   // 000000008A40: D2850007 0000A504
	v_add_u32_e32 v77, v6, v7                                  // 000000008A48: 689A0F06
	v_readlane_b32 s82, v3, 24                                 // 000000008A4C: D2890052 00013103
	s_lshr_b32 s61, s82, 24                                    // 000000008A54: 8F3D9852
	s_and_b32 s82, s82, 0xffffff                               // 000000008A58: 8652FF52 00FFFFFF
	s_mul_i32 s82, s82, s71                                    // 000000008A60: 92524752
	s_mul_i32 s61, s60, s61                                    // 000000008A64: 923D3D3C
	s_add_u32 s82, s82, s61                                    // 000000008A68: 80523D52
	v_mul_lo_u32 v6, v5, s82                                   // 000000008A6C: D2850006 0000A505
	v_readlane_b32 s82, v3, 25                                 // 000000008A74: D2890052 00013303
	s_lshr_b32 s61, s82, 24                                    // 000000008A7C: 8F3D9852
	s_and_b32 s82, s82, 0xffffff                               // 000000008A80: 8652FF52 00FFFFFF
	s_mul_i32 s82, s82, s71                                    // 000000008A88: 92524752
	s_mul_i32 s61, s60, s61                                    // 000000008A8C: 923D3D3C
	s_add_u32 s82, s82, s61                                    // 000000008A90: 80523D52
	v_mul_lo_u32 v7, v4, s82                                   // 000000008A94: D2850007 0000A504
	v_add_u32_e32 v78, v6, v7                                  // 000000008A9C: 689C0F06
	v_readlane_b32 s82, v3, 26                                 // 000000008AA0: D2890052 00013503
	s_lshr_b32 s61, s82, 24                                    // 000000008AA8: 8F3D9852
	s_and_b32 s82, s82, 0xffffff                               // 000000008AAC: 8652FF52 00FFFFFF
	s_mul_i32 s82, s82, s71                                    // 000000008AB4: 92524752
	s_mul_i32 s61, s60, s61                                    // 000000008AB8: 923D3D3C
	s_add_u32 s82, s82, s61                                    // 000000008ABC: 80523D52
	v_mul_lo_u32 v6, v5, s82                                   // 000000008AC0: D2850006 0000A505
	v_readlane_b32 s82, v3, 27                                 // 000000008AC8: D2890052 00013703
	s_lshr_b32 s61, s82, 24                                    // 000000008AD0: 8F3D9852
	s_and_b32 s82, s82, 0xffffff                               // 000000008AD4: 8652FF52 00FFFFFF
	s_mul_i32 s82, s82, s71                                    // 000000008ADC: 92524752
	s_mul_i32 s61, s60, s61                                    // 000000008AE0: 923D3D3C
	s_add_u32 s82, s82, s61                                    // 000000008AE4: 80523D52
	v_mul_lo_u32 v7, v4, s82                                   // 000000008AE8: D2850007 0000A504
	v_add_u32_e32 v79, v6, v7                                  // 000000008AF0: 689E0F06
	v_readlane_b32 s82, v3, 28                                 // 000000008AF4: D2890052 00013903
	s_lshr_b32 s61, s82, 24                                    // 000000008AFC: 8F3D9852
	s_and_b32 s82, s82, 0xffffff                               // 000000008B00: 8652FF52 00FFFFFF
	s_mul_i32 s82, s82, s71                                    // 000000008B08: 92524752
	s_mul_i32 s61, s60, s61                                    // 000000008B0C: 923D3D3C
	s_add_u32 s82, s82, s61                                    // 000000008B10: 80523D52
	v_mul_lo_u32 v6, v5, s82                                   // 000000008B14: D2850006 0000A505
	v_readlane_b32 s82, v3, 29                                 // 000000008B1C: D2890052 00013B03
	s_lshr_b32 s61, s82, 24                                    // 000000008B24: 8F3D9852
	s_and_b32 s82, s82, 0xffffff                               // 000000008B28: 8652FF52 00FFFFFF
	s_mul_i32 s82, s82, s71                                    // 000000008B30: 92524752
	s_mul_i32 s61, s60, s61                                    // 000000008B34: 923D3D3C
	s_add_u32 s82, s82, s61                                    // 000000008B38: 80523D52
	v_mul_lo_u32 v7, v4, s82                                   // 000000008B3C: D2850007 0000A504
	v_add_u32_e32 v80, v6, v7                                  // 000000008B44: 68A00F06
	v_readlane_b32 s82, v3, 30                                 // 000000008B48: D2890052 00013D03
	s_lshr_b32 s61, s82, 24                                    // 000000008B50: 8F3D9852
	s_and_b32 s82, s82, 0xffffff                               // 000000008B54: 8652FF52 00FFFFFF
	s_mul_i32 s82, s82, s71                                    // 000000008B5C: 92524752
	s_mul_i32 s61, s60, s61                                    // 000000008B60: 923D3D3C
	s_add_u32 s82, s82, s61                                    // 000000008B64: 80523D52
	v_mul_lo_u32 v6, v5, s82                                   // 000000008B68: D2850006 0000A505
	v_readlane_b32 s82, v3, 31                                 // 000000008B70: D2890052 00013F03
	s_lshr_b32 s61, s82, 24                                    // 000000008B78: 8F3D9852
	s_and_b32 s82, s82, 0xffffff                               // 000000008B7C: 8652FF52 00FFFFFF
	s_mul_i32 s82, s82, s71                                    // 000000008B84: 92524752
	s_mul_i32 s61, s60, s61                                    // 000000008B88: 923D3D3C
	s_add_u32 s82, s82, s61                                    // 000000008B8C: 80523D52
	v_mul_lo_u32 v7, v4, s82                                   // 000000008B90: D2850007 0000A504
	v_add_u32_e32 v81, v6, v7                                  // 000000008B98: 68A20F06
	v_readlane_b32 s82, v3, 32                                 // 000000008B9C: D2890052 00014103
	s_lshr_b32 s61, s82, 24                                    // 000000008BA4: 8F3D9852
	s_and_b32 s82, s82, 0xffffff                               // 000000008BA8: 8652FF52 00FFFFFF
	s_mul_i32 s82, s82, s71                                    // 000000008BB0: 92524752
	s_mul_i32 s61, s60, s61                                    // 000000008BB4: 923D3D3C
	s_add_u32 s82, s82, s61                                    // 000000008BB8: 80523D52
	v_mul_lo_u32 v6, v5, s82                                   // 000000008BBC: D2850006 0000A505
	v_readlane_b32 s82, v3, 33                                 // 000000008BC4: D2890052 00014303
	s_lshr_b32 s61, s82, 24                                    // 000000008BCC: 8F3D9852
	s_and_b32 s82, s82, 0xffffff                               // 000000008BD0: 8652FF52 00FFFFFF
	s_mul_i32 s82, s82, s71                                    // 000000008BD8: 92524752
	s_mul_i32 s61, s60, s61                                    // 000000008BDC: 923D3D3C
	s_add_u32 s82, s82, s61                                    // 000000008BE0: 80523D52
	v_mul_lo_u32 v7, v4, s82                                   // 000000008BE4: D2850007 0000A504
	v_add_u32_e32 v82, v6, v7                                  // 000000008BEC: 68A40F06
	v_readlane_b32 s82, v3, 34                                 // 000000008BF0: D2890052 00014503
	s_lshr_b32 s61, s82, 24                                    // 000000008BF8: 8F3D9852
	s_and_b32 s82, s82, 0xffffff                               // 000000008BFC: 8652FF52 00FFFFFF
	s_mul_i32 s82, s82, s71                                    // 000000008C04: 92524752
	s_mul_i32 s61, s60, s61                                    // 000000008C08: 923D3D3C
	s_add_u32 s82, s82, s61                                    // 000000008C0C: 80523D52
	v_mul_lo_u32 v6, v5, s82                                   // 000000008C10: D2850006 0000A505
	v_readlane_b32 s82, v3, 35                                 // 000000008C18: D2890052 00014703
	s_lshr_b32 s61, s82, 24                                    // 000000008C20: 8F3D9852
	s_and_b32 s82, s82, 0xffffff                               // 000000008C24: 8652FF52 00FFFFFF
	s_mul_i32 s82, s82, s71                                    // 000000008C2C: 92524752
	s_mul_i32 s61, s60, s61                                    // 000000008C30: 923D3D3C
	s_add_u32 s82, s82, s61                                    // 000000008C34: 80523D52
	v_mul_lo_u32 v7, v4, s82                                   // 000000008C38: D2850007 0000A504
	v_add_u32_e32 v83, v6, v7                                  // 000000008C40: 68A60F06
	v_and_b32_e32 v4, 31, v0                                   // 000000008C44: 2608009F
	v_lshrrev_b32_e32 v4, 1, v4                                // 000000008C48: 20080881
	s_cmp_eq_u32 s88, 0                                        // 000000008C4C: BF068058
	s_cselect_b32 s61, 2, 4                                    // 000000008C50: 853D8482
	v_mul_lo_u32 v4, v4, s61                                   // 000000008C54: D2850004 00007B04
	v_and_b32_e64 v5, v0, 1                                    // 000000008C5C: D1130005 00010300
	v_add_u32_e32 v4, v4, v5                                   // 000000008C64: 68080B04
	v_lshlrev_b32_e32 v4, 2, v4                                // 000000008C68: 24080882
	v_add_u32_e32 v66, v66, v4                                 // 000000008C6C: 68840942
	v_add_u32_e32 v67, v67, v4                                 // 000000008C70: 68860943
	v_add_u32_e32 v68, v68, v4                                 // 000000008C74: 68880944
	v_add_u32_e32 v69, v69, v4                                 // 000000008C78: 688A0945
	v_add_u32_e32 v70, v70, v4                                 // 000000008C7C: 688C0946
	v_add_u32_e32 v71, v71, v4                                 // 000000008C80: 688E0947
	v_add_u32_e32 v72, v72, v4                                 // 000000008C84: 68900948
	v_add_u32_e32 v73, v73, v4                                 // 000000008C88: 68920949
	v_add_u32_e32 v74, v74, v4                                 // 000000008C8C: 6894094A
	v_add_u32_e32 v75, v75, v4                                 // 000000008C90: 6896094B
	v_add_u32_e32 v76, v76, v4                                 // 000000008C94: 6898094C
	v_add_u32_e32 v77, v77, v4                                 // 000000008C98: 689A094D
	v_add_u32_e32 v78, v78, v4                                 // 000000008C9C: 689C094E
	v_add_u32_e32 v79, v79, v4                                 // 000000008CA0: 689E094F
	v_add_u32_e32 v80, v80, v4                                 // 000000008CA4: 68A00950
	v_add_u32_e32 v81, v81, v4                                 // 000000008CA8: 68A20951
	v_add_u32_e32 v82, v82, v4                                 // 000000008CAC: 68A40952
	v_add_u32_e32 v83, v83, v4                                 // 000000008CB0: 68A60953
	s_waitcnt lgkmcnt(0)                                       // 000000008CB4: BF8CC07F
	s_barrier                                                  // 000000008CB8: BF8A0000
	ds_read_b32 v88, v21                                       // 000000008CBC: D86C0000 58000015
	ds_read_b32 v89, v21 offset:64                             // 000000008CC4: D86C0040 59000015
	ds_read_b32 v90, v21 offset:2176                           // 000000008CCC: D86C0880 5A000015
	ds_read_b32 v91, v21 offset:2240                           // 000000008CD4: D86C08C0 5B000015
	ds_read_b32 v92, v21 offset:4352                           // 000000008CDC: D86C1100 5C000015
	ds_read_b32 v93, v21 offset:4416                           // 000000008CE4: D86C1140 5D000015
	ds_read_b32 v94, v21 offset:6528                           // 000000008CEC: D86C1980 5E000015
	ds_read_b32 v95, v21 offset:6592                           // 000000008CF4: D86C19C0 5F000015
	ds_read_b32 v96, v21 offset:8704                           // 000000008CFC: D86C2200 60000015
	ds_read_b32 v97, v21 offset:8768                           // 000000008D04: D86C2240 61000015
	ds_read_b32 v98, v21 offset:10880                          // 000000008D0C: D86C2A80 62000015
	ds_read_b32 v99, v21 offset:10944                          // 000000008D14: D86C2AC0 63000015
	ds_read_b32 v100, v21 offset:13056                         // 000000008D1C: D86C3300 64000015
	ds_read_b32 v101, v21 offset:13120                         // 000000008D24: D86C3340 65000015
	ds_read_b32 v102, v21 offset:15232                         // 000000008D2C: D86C3B80 66000015
	ds_read_b32 v103, v21 offset:15296                         // 000000008D34: D86C3BC0 67000015
	ds_read_b32 v104, v21 offset:17408                         // 000000008D3C: D86C4400 68000015
	ds_read_b32 v105, v21 offset:17472                         // 000000008D44: D86C4440 69000015
	ds_read_b32 v106, v21 offset:19584                         // 000000008D4C: D86C4C80 6A000015
	ds_read_b32 v107, v21 offset:19648                         // 000000008D54: D86C4CC0 6B000015
	ds_read_b32 v108, v21 offset:21760                         // 000000008D5C: D86C5500 6C000015
	ds_read_b32 v109, v21 offset:21824                         // 000000008D64: D86C5540 6D000015
	ds_read_b32 v110, v21 offset:23936                         // 000000008D6C: D86C5D80 6E000015
	ds_read_b32 v111, v21 offset:24000                         // 000000008D74: D86C5DC0 6F000015
	ds_read_b32 v112, v21 offset:26112                         // 000000008D7C: D86C6600 70000015
	ds_read_b32 v113, v21 offset:26176                         // 000000008D84: D86C6640 71000015
	ds_read_b32 v114, v21 offset:28288                         // 000000008D8C: D86C6E80 72000015
	ds_read_b32 v115, v21 offset:28352                         // 000000008D94: D86C6EC0 73000015
	ds_read_b32 v116, v21 offset:30464                         // 000000008D9C: D86C7700 74000015
	ds_read_b32 v117, v21 offset:30528                         // 000000008DA4: D86C7740 75000015
	ds_read_b32 v118, v21 offset:32640                         // 000000008DAC: D86C7F80 76000015
	ds_read_b32 v119, v21 offset:32704                         // 000000008DB4: D86C7FC0 77000015
	ds_read_b32 v120, v21 offset:34816                         // 000000008DBC: D86C8800 78000015
	ds_read_b32 v121, v21 offset:34880                         // 000000008DC4: D86C8840 79000015
	ds_read_b32 v122, v21 offset:36992                         // 000000008DCC: D86C9080 7A000015
	ds_read_b32 v123, v21 offset:37056                         // 000000008DD4: D86C90C0 7B000015
	s_waitcnt lgkmcnt(0)                                       // 000000008DDC: BF8CC07F
	s_mov_b32 s36, -1                                          // 000000008DE0: BEA400C1
	s_mov_b32 s37, -1                                          // 000000008DE4: BEA500C1
	v_mov_b32_e32 v7, 0                                        // 000000008DE8: 7E0E0280
	s_or_b32 s9, s9, 0x40000                                   // 000000008DEC: 8709FF09 00040000
	s_mov_b64 exec, s[36:37]                                   // 000000008DF4: BEFE0124
	v_mov_b32_e32 v6, v66                                      // 000000008DF8: 7E0C0342
	s_mov_b64 s[60:61], 0                                      // 000000008DFC: BEBC0180
	v_readlane_b32 s82, v3, 0                                  // 000000008E00: D2890052 00010103
	s_and_b32 s82, s82, 0xffffff                               // 000000008E08: 8652FF52 00FFFFFF
	s_cmp_lt_u32 s82, s66                                      // 000000008E10: BF0A4252
	s_cselect_b32 s20, s36, s60                                // 000000008E14: 85143C24
	v_readlane_b32 s82, v3, 1                                  // 000000008E18: D2890052 00010303
	s_and_b32 s82, s82, 0xffffff                               // 000000008E20: 8652FF52 00FFFFFF
	s_cmp_lt_u32 s82, s66                                      // 000000008E28: BF0A4252
	s_cselect_b32 s21, s36, s60                                // 000000008E2C: 85153C24
	s_mov_b64 exec, s[20:21]                                   // 000000008E30: BEFE0114
	buffer_store_dword v88, v6, s[8:11], 0 offen               // 000000008E34: E0701000 80025806
	buffer_store_dword v90, v6, s[8:11], 0 offen offset:128    // 000000008E3C: E0701080 80025A06
	s_mov_b64 exec, s[36:37]                                   // 000000008E44: BEFE0124
	v_mov_b32_e32 v6, v67                                      // 000000008E48: 7E0C0343
	s_mov_b64 s[60:61], 0                                      // 000000008E4C: BEBC0180
	v_readlane_b32 s82, v3, 2                                  // 000000008E50: D2890052 00010503
	s_and_b32 s82, s82, 0xffffff                               // 000000008E58: 8652FF52 00FFFFFF
	s_cmp_lt_u32 s82, s66                                      // 000000008E60: BF0A4252
	s_cselect_b32 s20, s36, s60                                // 000000008E64: 85143C24
	v_readlane_b32 s82, v3, 3                                  // 000000008E68: D2890052 00010703
	s_and_b32 s82, s82, 0xffffff                               // 000000008E70: 8652FF52 00FFFFFF
	s_cmp_lt_u32 s82, s66                                      // 000000008E78: BF0A4252
	s_cselect_b32 s21, s36, s60                                // 000000008E7C: 85153C24
	s_mov_b64 exec, s[20:21]                                   // 000000008E80: BEFE0114
	buffer_store_dword v89, v6, s[8:11], 0 offen               // 000000008E84: E0701000 80025906
	buffer_store_dword v91, v6, s[8:11], 0 offen offset:128    // 000000008E8C: E0701080 80025B06
	s_mov_b64 exec, s[36:37]                                   // 000000008E94: BEFE0124
	v_mov_b32_e32 v6, v68                                      // 000000008E98: 7E0C0344
	s_mov_b64 s[60:61], 0                                      // 000000008E9C: BEBC0180
	v_readlane_b32 s82, v3, 4                                  // 000000008EA0: D2890052 00010903
	s_and_b32 s82, s82, 0xffffff                               // 000000008EA8: 8652FF52 00FFFFFF
	s_cmp_lt_u32 s82, s66                                      // 000000008EB0: BF0A4252
	s_cselect_b32 s20, s36, s60                                // 000000008EB4: 85143C24
	v_readlane_b32 s82, v3, 5                                  // 000000008EB8: D2890052 00010B03
	s_and_b32 s82, s82, 0xffffff                               // 000000008EC0: 8652FF52 00FFFFFF
	s_cmp_lt_u32 s82, s66                                      // 000000008EC8: BF0A4252
	s_cselect_b32 s21, s36, s60                                // 000000008ECC: 85153C24
	s_mov_b64 exec, s[20:21]                                   // 000000008ED0: BEFE0114
	buffer_store_dword v92, v6, s[8:11], 0 offen               // 000000008ED4: E0701000 80025C06
	buffer_store_dword v94, v6, s[8:11], 0 offen offset:128    // 000000008EDC: E0701080 80025E06
	s_mov_b64 exec, s[36:37]                                   // 000000008EE4: BEFE0124
	v_mov_b32_e32 v6, v69                                      // 000000008EE8: 7E0C0345
	s_mov_b64 s[60:61], 0                                      // 000000008EEC: BEBC0180
	v_readlane_b32 s82, v3, 6                                  // 000000008EF0: D2890052 00010D03
	s_and_b32 s82, s82, 0xffffff                               // 000000008EF8: 8652FF52 00FFFFFF
	s_cmp_lt_u32 s82, s66                                      // 000000008F00: BF0A4252
	s_cselect_b32 s20, s36, s60                                // 000000008F04: 85143C24
	v_readlane_b32 s82, v3, 7                                  // 000000008F08: D2890052 00010F03
	s_and_b32 s82, s82, 0xffffff                               // 000000008F10: 8652FF52 00FFFFFF
	s_cmp_lt_u32 s82, s66                                      // 000000008F18: BF0A4252
	s_cselect_b32 s21, s36, s60                                // 000000008F1C: 85153C24
	s_mov_b64 exec, s[20:21]                                   // 000000008F20: BEFE0114
	buffer_store_dword v93, v6, s[8:11], 0 offen               // 000000008F24: E0701000 80025D06
	buffer_store_dword v95, v6, s[8:11], 0 offen offset:128    // 000000008F2C: E0701080 80025F06
	s_mov_b64 exec, s[36:37]                                   // 000000008F34: BEFE0124
	v_mov_b32_e32 v6, v70                                      // 000000008F38: 7E0C0346
	s_mov_b64 s[60:61], 0                                      // 000000008F3C: BEBC0180
	v_readlane_b32 s82, v3, 8                                  // 000000008F40: D2890052 00011103
	s_and_b32 s82, s82, 0xffffff                               // 000000008F48: 8652FF52 00FFFFFF
	s_cmp_lt_u32 s82, s66                                      // 000000008F50: BF0A4252
	s_cselect_b32 s20, s36, s60                                // 000000008F54: 85143C24
	v_readlane_b32 s82, v3, 9                                  // 000000008F58: D2890052 00011303
	s_and_b32 s82, s82, 0xffffff                               // 000000008F60: 8652FF52 00FFFFFF
	s_cmp_lt_u32 s82, s66                                      // 000000008F68: BF0A4252
	s_cselect_b32 s21, s36, s60                                // 000000008F6C: 85153C24
	s_mov_b64 exec, s[20:21]                                   // 000000008F70: BEFE0114
	buffer_store_dword v96, v6, s[8:11], 0 offen               // 000000008F74: E0701000 80026006
	buffer_store_dword v98, v6, s[8:11], 0 offen offset:128    // 000000008F7C: E0701080 80026206
	s_mov_b64 exec, s[36:37]                                   // 000000008F84: BEFE0124
	v_mov_b32_e32 v6, v71                                      // 000000008F88: 7E0C0347
	s_mov_b64 s[60:61], 0                                      // 000000008F8C: BEBC0180
	v_readlane_b32 s82, v3, 10                                 // 000000008F90: D2890052 00011503
	s_and_b32 s82, s82, 0xffffff                               // 000000008F98: 8652FF52 00FFFFFF
	s_cmp_lt_u32 s82, s66                                      // 000000008FA0: BF0A4252
	s_cselect_b32 s20, s36, s60                                // 000000008FA4: 85143C24
	v_readlane_b32 s82, v3, 11                                 // 000000008FA8: D2890052 00011703
	s_and_b32 s82, s82, 0xffffff                               // 000000008FB0: 8652FF52 00FFFFFF
	s_cmp_lt_u32 s82, s66                                      // 000000008FB8: BF0A4252
	s_cselect_b32 s21, s36, s60                                // 000000008FBC: 85153C24
	s_mov_b64 exec, s[20:21]                                   // 000000008FC0: BEFE0114
	buffer_store_dword v97, v6, s[8:11], 0 offen               // 000000008FC4: E0701000 80026106
	buffer_store_dword v99, v6, s[8:11], 0 offen offset:128    // 000000008FCC: E0701080 80026306
	s_mov_b64 exec, s[36:37]                                   // 000000008FD4: BEFE0124
	v_mov_b32_e32 v6, v72                                      // 000000008FD8: 7E0C0348
	s_mov_b64 s[60:61], 0                                      // 000000008FDC: BEBC0180
	v_readlane_b32 s82, v3, 12                                 // 000000008FE0: D2890052 00011903
	s_and_b32 s82, s82, 0xffffff                               // 000000008FE8: 8652FF52 00FFFFFF
	s_cmp_lt_u32 s82, s66                                      // 000000008FF0: BF0A4252
	s_cselect_b32 s20, s36, s60                                // 000000008FF4: 85143C24
	v_readlane_b32 s82, v3, 13                                 // 000000008FF8: D2890052 00011B03
	s_and_b32 s82, s82, 0xffffff                               // 000000009000: 8652FF52 00FFFFFF
	s_cmp_lt_u32 s82, s66                                      // 000000009008: BF0A4252
	s_cselect_b32 s21, s36, s60                                // 00000000900C: 85153C24
	s_mov_b64 exec, s[20:21]                                   // 000000009010: BEFE0114
	buffer_store_dword v100, v6, s[8:11], 0 offen              // 000000009014: E0701000 80026406
	buffer_store_dword v102, v6, s[8:11], 0 offen offset:128   // 00000000901C: E0701080 80026606
	s_mov_b64 exec, s[36:37]                                   // 000000009024: BEFE0124
	v_mov_b32_e32 v6, v73                                      // 000000009028: 7E0C0349
	s_mov_b64 s[60:61], 0                                      // 00000000902C: BEBC0180
	v_readlane_b32 s82, v3, 14                                 // 000000009030: D2890052 00011D03
	s_and_b32 s82, s82, 0xffffff                               // 000000009038: 8652FF52 00FFFFFF
	s_cmp_lt_u32 s82, s66                                      // 000000009040: BF0A4252
	s_cselect_b32 s20, s36, s60                                // 000000009044: 85143C24
	v_readlane_b32 s82, v3, 15                                 // 000000009048: D2890052 00011F03
	s_and_b32 s82, s82, 0xffffff                               // 000000009050: 8652FF52 00FFFFFF
	s_cmp_lt_u32 s82, s66                                      // 000000009058: BF0A4252
	s_cselect_b32 s21, s36, s60                                // 00000000905C: 85153C24
	s_mov_b64 exec, s[20:21]                                   // 000000009060: BEFE0114
	buffer_store_dword v101, v6, s[8:11], 0 offen              // 000000009064: E0701000 80026506
	buffer_store_dword v103, v6, s[8:11], 0 offen offset:128   // 00000000906C: E0701080 80026706
	s_mov_b64 exec, s[36:37]                                   // 000000009074: BEFE0124
	v_mov_b32_e32 v6, v74                                      // 000000009078: 7E0C034A
	s_mov_b64 s[60:61], 0                                      // 00000000907C: BEBC0180
	v_readlane_b32 s82, v3, 16                                 // 000000009080: D2890052 00012103
	s_and_b32 s82, s82, 0xffffff                               // 000000009088: 8652FF52 00FFFFFF
	s_cmp_lt_u32 s82, s66                                      // 000000009090: BF0A4252
	s_cselect_b32 s20, s36, s60                                // 000000009094: 85143C24
	v_readlane_b32 s82, v3, 17                                 // 000000009098: D2890052 00012303
	s_and_b32 s82, s82, 0xffffff                               // 0000000090A0: 8652FF52 00FFFFFF
	s_cmp_lt_u32 s82, s66                                      // 0000000090A8: BF0A4252
	s_cselect_b32 s21, s36, s60                                // 0000000090AC: 85153C24
	s_mov_b64 exec, s[20:21]                                   // 0000000090B0: BEFE0114
	buffer_store_dword v104, v6, s[8:11], 0 offen              // 0000000090B4: E0701000 80026806
	buffer_store_dword v106, v6, s[8:11], 0 offen offset:128   // 0000000090BC: E0701080 80026A06
	s_mov_b64 exec, s[36:37]                                   // 0000000090C4: BEFE0124
	v_mov_b32_e32 v6, v75                                      // 0000000090C8: 7E0C034B
	s_mov_b64 s[60:61], 0                                      // 0000000090CC: BEBC0180
	v_readlane_b32 s82, v3, 18                                 // 0000000090D0: D2890052 00012503
	s_and_b32 s82, s82, 0xffffff                               // 0000000090D8: 8652FF52 00FFFFFF
	s_cmp_lt_u32 s82, s66                                      // 0000000090E0: BF0A4252
	s_cselect_b32 s20, s36, s60                                // 0000000090E4: 85143C24
	v_readlane_b32 s82, v3, 19                                 // 0000000090E8: D2890052 00012703
	s_and_b32 s82, s82, 0xffffff                               // 0000000090F0: 8652FF52 00FFFFFF
	s_cmp_lt_u32 s82, s66                                      // 0000000090F8: BF0A4252
	s_cselect_b32 s21, s36, s60                                // 0000000090FC: 85153C24
	s_mov_b64 exec, s[20:21]                                   // 000000009100: BEFE0114
	buffer_store_dword v105, v6, s[8:11], 0 offen              // 000000009104: E0701000 80026906
	buffer_store_dword v107, v6, s[8:11], 0 offen offset:128   // 00000000910C: E0701080 80026B06
	s_mov_b64 exec, s[36:37]                                   // 000000009114: BEFE0124
	v_mov_b32_e32 v6, v76                                      // 000000009118: 7E0C034C
	s_mov_b64 s[60:61], 0                                      // 00000000911C: BEBC0180
	v_readlane_b32 s82, v3, 20                                 // 000000009120: D2890052 00012903
	s_and_b32 s82, s82, 0xffffff                               // 000000009128: 8652FF52 00FFFFFF
	s_cmp_lt_u32 s82, s66                                      // 000000009130: BF0A4252
	s_cselect_b32 s20, s36, s60                                // 000000009134: 85143C24
	v_readlane_b32 s82, v3, 21                                 // 000000009138: D2890052 00012B03
	s_and_b32 s82, s82, 0xffffff                               // 000000009140: 8652FF52 00FFFFFF
	s_cmp_lt_u32 s82, s66                                      // 000000009148: BF0A4252
	s_cselect_b32 s21, s36, s60                                // 00000000914C: 85153C24
	s_mov_b64 exec, s[20:21]                                   // 000000009150: BEFE0114
	buffer_store_dword v108, v6, s[8:11], 0 offen              // 000000009154: E0701000 80026C06
	buffer_store_dword v110, v6, s[8:11], 0 offen offset:128   // 00000000915C: E0701080 80026E06
	s_mov_b64 exec, s[36:37]                                   // 000000009164: BEFE0124
	v_mov_b32_e32 v6, v77                                      // 000000009168: 7E0C034D
	s_mov_b64 s[60:61], 0                                      // 00000000916C: BEBC0180
	v_readlane_b32 s82, v3, 22                                 // 000000009170: D2890052 00012D03
	s_and_b32 s82, s82, 0xffffff                               // 000000009178: 8652FF52 00FFFFFF
	s_cmp_lt_u32 s82, s66                                      // 000000009180: BF0A4252
	s_cselect_b32 s20, s36, s60                                // 000000009184: 85143C24
	v_readlane_b32 s82, v3, 23                                 // 000000009188: D2890052 00012F03
	s_and_b32 s82, s82, 0xffffff                               // 000000009190: 8652FF52 00FFFFFF
	s_cmp_lt_u32 s82, s66                                      // 000000009198: BF0A4252
	s_cselect_b32 s21, s36, s60                                // 00000000919C: 85153C24
	s_mov_b64 exec, s[20:21]                                   // 0000000091A0: BEFE0114
	buffer_store_dword v109, v6, s[8:11], 0 offen              // 0000000091A4: E0701000 80026D06
	buffer_store_dword v111, v6, s[8:11], 0 offen offset:128   // 0000000091AC: E0701080 80026F06
	s_mov_b64 exec, s[36:37]                                   // 0000000091B4: BEFE0124
	v_mov_b32_e32 v6, v78                                      // 0000000091B8: 7E0C034E
	s_mov_b64 s[60:61], 0                                      // 0000000091BC: BEBC0180
	v_readlane_b32 s82, v3, 24                                 // 0000000091C0: D2890052 00013103
	s_and_b32 s82, s82, 0xffffff                               // 0000000091C8: 8652FF52 00FFFFFF
	s_cmp_lt_u32 s82, s66                                      // 0000000091D0: BF0A4252
	s_cselect_b32 s20, s36, s60                                // 0000000091D4: 85143C24
	v_readlane_b32 s82, v3, 25                                 // 0000000091D8: D2890052 00013303
	s_and_b32 s82, s82, 0xffffff                               // 0000000091E0: 8652FF52 00FFFFFF
	s_cmp_lt_u32 s82, s66                                      // 0000000091E8: BF0A4252
	s_cselect_b32 s21, s36, s60                                // 0000000091EC: 85153C24
	s_mov_b64 exec, s[20:21]                                   // 0000000091F0: BEFE0114
	buffer_store_dword v112, v6, s[8:11], 0 offen              // 0000000091F4: E0701000 80027006
	buffer_store_dword v114, v6, s[8:11], 0 offen offset:128   // 0000000091FC: E0701080 80027206
	s_mov_b64 exec, s[36:37]                                   // 000000009204: BEFE0124
	v_mov_b32_e32 v6, v79                                      // 000000009208: 7E0C034F
	s_mov_b64 s[60:61], 0                                      // 00000000920C: BEBC0180
	v_readlane_b32 s82, v3, 26                                 // 000000009210: D2890052 00013503
	s_and_b32 s82, s82, 0xffffff                               // 000000009218: 8652FF52 00FFFFFF
	s_cmp_lt_u32 s82, s66                                      // 000000009220: BF0A4252
	s_cselect_b32 s20, s36, s60                                // 000000009224: 85143C24
	v_readlane_b32 s82, v3, 27                                 // 000000009228: D2890052 00013703
	s_and_b32 s82, s82, 0xffffff                               // 000000009230: 8652FF52 00FFFFFF
	s_cmp_lt_u32 s82, s66                                      // 000000009238: BF0A4252
	s_cselect_b32 s21, s36, s60                                // 00000000923C: 85153C24
	s_mov_b64 exec, s[20:21]                                   // 000000009240: BEFE0114
	buffer_store_dword v113, v6, s[8:11], 0 offen              // 000000009244: E0701000 80027106
	buffer_store_dword v115, v6, s[8:11], 0 offen offset:128   // 00000000924C: E0701080 80027306
	s_mov_b64 exec, s[36:37]                                   // 000000009254: BEFE0124
	v_mov_b32_e32 v6, v80                                      // 000000009258: 7E0C0350
	s_mov_b64 s[60:61], 0                                      // 00000000925C: BEBC0180
	v_readlane_b32 s82, v3, 28                                 // 000000009260: D2890052 00013903
	s_and_b32 s82, s82, 0xffffff                               // 000000009268: 8652FF52 00FFFFFF
	s_cmp_lt_u32 s82, s66                                      // 000000009270: BF0A4252
	s_cselect_b32 s20, s36, s60                                // 000000009274: 85143C24
	v_readlane_b32 s82, v3, 29                                 // 000000009278: D2890052 00013B03
	s_and_b32 s82, s82, 0xffffff                               // 000000009280: 8652FF52 00FFFFFF
	s_cmp_lt_u32 s82, s66                                      // 000000009288: BF0A4252
	s_cselect_b32 s21, s36, s60                                // 00000000928C: 85153C24
	s_mov_b64 exec, s[20:21]                                   // 000000009290: BEFE0114
	buffer_store_dword v116, v6, s[8:11], 0 offen              // 000000009294: E0701000 80027406
	buffer_store_dword v118, v6, s[8:11], 0 offen offset:128   // 00000000929C: E0701080 80027606
	s_mov_b64 exec, s[36:37]                                   // 0000000092A4: BEFE0124
	v_mov_b32_e32 v6, v81                                      // 0000000092A8: 7E0C0351
	s_mov_b64 s[60:61], 0                                      // 0000000092AC: BEBC0180
	v_readlane_b32 s82, v3, 30                                 // 0000000092B0: D2890052 00013D03
	s_and_b32 s82, s82, 0xffffff                               // 0000000092B8: 8652FF52 00FFFFFF
	s_cmp_lt_u32 s82, s66                                      // 0000000092C0: BF0A4252
	s_cselect_b32 s20, s36, s60                                // 0000000092C4: 85143C24
	v_readlane_b32 s82, v3, 31                                 // 0000000092C8: D2890052 00013F03
	s_and_b32 s82, s82, 0xffffff                               // 0000000092D0: 8652FF52 00FFFFFF
	s_cmp_lt_u32 s82, s66                                      // 0000000092D8: BF0A4252
	s_cselect_b32 s21, s36, s60                                // 0000000092DC: 85153C24
	s_mov_b64 exec, s[20:21]                                   // 0000000092E0: BEFE0114
	buffer_store_dword v117, v6, s[8:11], 0 offen              // 0000000092E4: E0701000 80027506
	buffer_store_dword v119, v6, s[8:11], 0 offen offset:128   // 0000000092EC: E0701080 80027706
	s_mov_b64 exec, s[36:37]                                   // 0000000092F4: BEFE0124
	v_mov_b32_e32 v6, v82                                      // 0000000092F8: 7E0C0352
	s_mov_b64 s[60:61], 0                                      // 0000000092FC: BEBC0180
	v_readlane_b32 s82, v3, 32                                 // 000000009300: D2890052 00014103
	s_and_b32 s82, s82, 0xffffff                               // 000000009308: 8652FF52 00FFFFFF
	s_cmp_lt_u32 s82, s66                                      // 000000009310: BF0A4252
	s_cselect_b32 s20, s36, s60                                // 000000009314: 85143C24
	v_readlane_b32 s82, v3, 33                                 // 000000009318: D2890052 00014303
	s_and_b32 s82, s82, 0xffffff                               // 000000009320: 8652FF52 00FFFFFF
	s_cmp_lt_u32 s82, s66                                      // 000000009328: BF0A4252
	s_cselect_b32 s21, s36, s60                                // 00000000932C: 85153C24
	s_mov_b64 exec, s[20:21]                                   // 000000009330: BEFE0114
	buffer_store_dword v120, v6, s[8:11], 0 offen              // 000000009334: E0701000 80027806
	buffer_store_dword v122, v6, s[8:11], 0 offen offset:128   // 00000000933C: E0701080 80027A06
	s_mov_b64 exec, s[36:37]                                   // 000000009344: BEFE0124
	v_mov_b32_e32 v6, v83                                      // 000000009348: 7E0C0353
	s_mov_b64 s[60:61], 0                                      // 00000000934C: BEBC0180
	v_readlane_b32 s82, v3, 34                                 // 000000009350: D2890052 00014503
	s_and_b32 s82, s82, 0xffffff                               // 000000009358: 8652FF52 00FFFFFF
	s_cmp_lt_u32 s82, s66                                      // 000000009360: BF0A4252
	s_cselect_b32 s20, s36, s60                                // 000000009364: 85143C24
	v_readlane_b32 s82, v3, 35                                 // 000000009368: D2890052 00014703
	s_and_b32 s82, s82, 0xffffff                               // 000000009370: 8652FF52 00FFFFFF
	s_cmp_lt_u32 s82, s66                                      // 000000009378: BF0A4252
	s_cselect_b32 s21, s36, s60                                // 00000000937C: 85153C24
	s_mov_b64 exec, s[20:21]                                   // 000000009380: BEFE0114
	buffer_store_dword v121, v6, s[8:11], 0 offen              // 000000009384: E0701000 80027906
	buffer_store_dword v123, v6, s[8:11], 0 offen offset:128   // 00000000938C: E0701080 80027B06
	s_mov_b64 exec, s[36:37]                                   // 000000009394: BEFE0124
	s_branch label_42F6                                        // 000000009398: BF82288C

000000000000939c <label_1A67>:
	ds_write_b64 v20, v[88:89]                                 // 00000000939C: D89A0000 00005814
	ds_write_b64 v20, v[92:93] offset:4352                     // 0000000093A4: D89A1100 00005C14
	ds_write_b64 v20, v[96:97] offset:8704                     // 0000000093AC: D89A2200 00006014
	ds_write_b64 v20, v[100:101] offset:13056                  // 0000000093B4: D89A3300 00006414
	ds_write_b64 v20, v[104:105] offset:17408                  // 0000000093BC: D89A4400 00006814
	ds_write_b64 v20, v[108:109] offset:21760                  // 0000000093C4: D89A5500 00006C14
	ds_write_b64 v20, v[112:113] offset:26112                  // 0000000093CC: D89A6600 00007014
	ds_write_b64 v20, v[116:117] offset:30464                  // 0000000093D4: D89A7700 00007414
	ds_write_b64 v20, v[120:121] offset:34816                  // 0000000093DC: D89A8800 00007814
	ds_write_b64 v20, v[124:125] offset:2176                   // 0000000093E4: D89A0880 00007C14
	ds_write_b64 v20, v[128:129] offset:6528                   // 0000000093EC: D89A1980 00008014
	ds_write_b64 v20, v[132:133] offset:10880                  // 0000000093F4: D89A2A80 00008414
	ds_write_b64 v20, v[136:137] offset:15232                  // 0000000093FC: D89A3B80 00008814
	ds_write_b64 v20, v[140:141] offset:19584                  // 000000009404: D89A4C80 00008C14
	ds_write_b64 v20, v[144:145] offset:23936                  // 00000000940C: D89A5D80 00009014
	ds_write_b64 v20, v[148:149] offset:28288                  // 000000009414: D89A6E80 00009414
	ds_write_b64 v20, v[152:153] offset:32640                  // 00000000941C: D89A7F80 00009814
	ds_write_b64 v20, v[156:157] offset:36992                  // 000000009424: D89A9080 00009C14
	v_lshrrev_b32_e32 v4, 5, v0                                // 00000000942C: 20080085
	v_xor_b32_e32 v5, 1, v4                                    // 000000009430: 2A0A0881
	s_mul_i32 s60, s65, 2                                      // 000000009434: 923C8241
	s_cmp_eq_u32 s88, 0                                        // 000000009438: BF068058
	s_cselect_b32 s61, 1, 4                                    // 00000000943C: 853D8481
	s_mul_i32 s60, s61, s60                                    // 000000009440: 923C3C3D
	v_readlane_b32 s82, v3, 0                                  // 000000009444: D2890052 00010103
	s_lshr_b32 s61, s82, 24                                    // 00000000944C: 8F3D9852
	s_and_b32 s82, s82, 0xffffff                               // 000000009450: 8652FF52 00FFFFFF
	s_mul_i32 s82, s82, s71                                    // 000000009458: 92524752
	s_mul_i32 s61, s60, s61                                    // 00000000945C: 923D3D3C
	s_add_u32 s82, s82, s61                                    // 000000009460: 80523D52
	v_mul_lo_u32 v6, v5, s82                                   // 000000009464: D2850006 0000A505
	v_readlane_b32 s82, v3, 1                                  // 00000000946C: D2890052 00010303
	s_lshr_b32 s61, s82, 24                                    // 000000009474: 8F3D9852
	s_and_b32 s82, s82, 0xffffff                               // 000000009478: 8652FF52 00FFFFFF
	s_mul_i32 s82, s82, s71                                    // 000000009480: 92524752
	s_mul_i32 s61, s60, s61                                    // 000000009484: 923D3D3C
	s_add_u32 s82, s82, s61                                    // 000000009488: 80523D52
	v_mul_lo_u32 v7, v4, s82                                   // 00000000948C: D2850007 0000A504
	v_add_u32_e32 v66, v6, v7                                  // 000000009494: 68840F06
	v_readlane_b32 s82, v3, 2                                  // 000000009498: D2890052 00010503
	s_lshr_b32 s61, s82, 24                                    // 0000000094A0: 8F3D9852
	s_and_b32 s82, s82, 0xffffff                               // 0000000094A4: 8652FF52 00FFFFFF
	s_mul_i32 s82, s82, s71                                    // 0000000094AC: 92524752
	s_mul_i32 s61, s60, s61                                    // 0000000094B0: 923D3D3C
	s_add_u32 s82, s82, s61                                    // 0000000094B4: 80523D52
	v_mul_lo_u32 v6, v5, s82                                   // 0000000094B8: D2850006 0000A505
	v_readlane_b32 s82, v3, 3                                  // 0000000094C0: D2890052 00010703
	s_lshr_b32 s61, s82, 24                                    // 0000000094C8: 8F3D9852
	s_and_b32 s82, s82, 0xffffff                               // 0000000094CC: 8652FF52 00FFFFFF
	s_mul_i32 s82, s82, s71                                    // 0000000094D4: 92524752
	s_mul_i32 s61, s60, s61                                    // 0000000094D8: 923D3D3C
	s_add_u32 s82, s82, s61                                    // 0000000094DC: 80523D52
	v_mul_lo_u32 v7, v4, s82                                   // 0000000094E0: D2850007 0000A504
	v_add_u32_e32 v67, v6, v7                                  // 0000000094E8: 68860F06
	v_readlane_b32 s82, v3, 4                                  // 0000000094EC: D2890052 00010903
	s_lshr_b32 s61, s82, 24                                    // 0000000094F4: 8F3D9852
	s_and_b32 s82, s82, 0xffffff                               // 0000000094F8: 8652FF52 00FFFFFF
	s_mul_i32 s82, s82, s71                                    // 000000009500: 92524752
	s_mul_i32 s61, s60, s61                                    // 000000009504: 923D3D3C
	s_add_u32 s82, s82, s61                                    // 000000009508: 80523D52
	v_mul_lo_u32 v6, v5, s82                                   // 00000000950C: D2850006 0000A505
	v_readlane_b32 s82, v3, 5                                  // 000000009514: D2890052 00010B03
	s_lshr_b32 s61, s82, 24                                    // 00000000951C: 8F3D9852
	s_and_b32 s82, s82, 0xffffff                               // 000000009520: 8652FF52 00FFFFFF
	s_mul_i32 s82, s82, s71                                    // 000000009528: 92524752
	s_mul_i32 s61, s60, s61                                    // 00000000952C: 923D3D3C
	s_add_u32 s82, s82, s61                                    // 000000009530: 80523D52
	v_mul_lo_u32 v7, v4, s82                                   // 000000009534: D2850007 0000A504
	v_add_u32_e32 v68, v6, v7                                  // 00000000953C: 68880F06
	v_readlane_b32 s82, v3, 6                                  // 000000009540: D2890052 00010D03
	s_lshr_b32 s61, s82, 24                                    // 000000009548: 8F3D9852
	s_and_b32 s82, s82, 0xffffff                               // 00000000954C: 8652FF52 00FFFFFF
	s_mul_i32 s82, s82, s71                                    // 000000009554: 92524752
	s_mul_i32 s61, s60, s61                                    // 000000009558: 923D3D3C
	s_add_u32 s82, s82, s61                                    // 00000000955C: 80523D52
	v_mul_lo_u32 v6, v5, s82                                   // 000000009560: D2850006 0000A505
	v_readlane_b32 s82, v3, 7                                  // 000000009568: D2890052 00010F03
	s_lshr_b32 s61, s82, 24                                    // 000000009570: 8F3D9852
	s_and_b32 s82, s82, 0xffffff                               // 000000009574: 8652FF52 00FFFFFF
	s_mul_i32 s82, s82, s71                                    // 00000000957C: 92524752
	s_mul_i32 s61, s60, s61                                    // 000000009580: 923D3D3C
	s_add_u32 s82, s82, s61                                    // 000000009584: 80523D52
	v_mul_lo_u32 v7, v4, s82                                   // 000000009588: D2850007 0000A504
	v_add_u32_e32 v69, v6, v7                                  // 000000009590: 688A0F06
	v_readlane_b32 s82, v3, 8                                  // 000000009594: D2890052 00011103
	s_lshr_b32 s61, s82, 24                                    // 00000000959C: 8F3D9852
	s_and_b32 s82, s82, 0xffffff                               // 0000000095A0: 8652FF52 00FFFFFF
	s_mul_i32 s82, s82, s71                                    // 0000000095A8: 92524752
	s_mul_i32 s61, s60, s61                                    // 0000000095AC: 923D3D3C
	s_add_u32 s82, s82, s61                                    // 0000000095B0: 80523D52
	v_mul_lo_u32 v6, v5, s82                                   // 0000000095B4: D2850006 0000A505
	v_readlane_b32 s82, v3, 9                                  // 0000000095BC: D2890052 00011303
	s_lshr_b32 s61, s82, 24                                    // 0000000095C4: 8F3D9852
	s_and_b32 s82, s82, 0xffffff                               // 0000000095C8: 8652FF52 00FFFFFF
	s_mul_i32 s82, s82, s71                                    // 0000000095D0: 92524752
	s_mul_i32 s61, s60, s61                                    // 0000000095D4: 923D3D3C
	s_add_u32 s82, s82, s61                                    // 0000000095D8: 80523D52
	v_mul_lo_u32 v7, v4, s82                                   // 0000000095DC: D2850007 0000A504
	v_add_u32_e32 v70, v6, v7                                  // 0000000095E4: 688C0F06
	v_readlane_b32 s82, v3, 10                                 // 0000000095E8: D2890052 00011503
	s_lshr_b32 s61, s82, 24                                    // 0000000095F0: 8F3D9852
	s_and_b32 s82, s82, 0xffffff                               // 0000000095F4: 8652FF52 00FFFFFF
	s_mul_i32 s82, s82, s71                                    // 0000000095FC: 92524752
	s_mul_i32 s61, s60, s61                                    // 000000009600: 923D3D3C
	s_add_u32 s82, s82, s61                                    // 000000009604: 80523D52
	v_mul_lo_u32 v6, v5, s82                                   // 000000009608: D2850006 0000A505
	v_readlane_b32 s82, v3, 11                                 // 000000009610: D2890052 00011703
	s_lshr_b32 s61, s82, 24                                    // 000000009618: 8F3D9852
	s_and_b32 s82, s82, 0xffffff                               // 00000000961C: 8652FF52 00FFFFFF
	s_mul_i32 s82, s82, s71                                    // 000000009624: 92524752
	s_mul_i32 s61, s60, s61                                    // 000000009628: 923D3D3C
	s_add_u32 s82, s82, s61                                    // 00000000962C: 80523D52
	v_mul_lo_u32 v7, v4, s82                                   // 000000009630: D2850007 0000A504
	v_add_u32_e32 v71, v6, v7                                  // 000000009638: 688E0F06
	v_readlane_b32 s82, v3, 12                                 // 00000000963C: D2890052 00011903
	s_lshr_b32 s61, s82, 24                                    // 000000009644: 8F3D9852
	s_and_b32 s82, s82, 0xffffff                               // 000000009648: 8652FF52 00FFFFFF
	s_mul_i32 s82, s82, s71                                    // 000000009650: 92524752
	s_mul_i32 s61, s60, s61                                    // 000000009654: 923D3D3C
	s_add_u32 s82, s82, s61                                    // 000000009658: 80523D52
	v_mul_lo_u32 v6, v5, s82                                   // 00000000965C: D2850006 0000A505
	v_readlane_b32 s82, v3, 13                                 // 000000009664: D2890052 00011B03
	s_lshr_b32 s61, s82, 24                                    // 00000000966C: 8F3D9852
	s_and_b32 s82, s82, 0xffffff                               // 000000009670: 8652FF52 00FFFFFF
	s_mul_i32 s82, s82, s71                                    // 000000009678: 92524752
	s_mul_i32 s61, s60, s61                                    // 00000000967C: 923D3D3C
	s_add_u32 s82, s82, s61                                    // 000000009680: 80523D52
	v_mul_lo_u32 v7, v4, s82                                   // 000000009684: D2850007 0000A504
	v_add_u32_e32 v72, v6, v7                                  // 00000000968C: 68900F06
	v_readlane_b32 s82, v3, 14                                 // 000000009690: D2890052 00011D03
	s_lshr_b32 s61, s82, 24                                    // 000000009698: 8F3D9852
	s_and_b32 s82, s82, 0xffffff                               // 00000000969C: 8652FF52 00FFFFFF
	s_mul_i32 s82, s82, s71                                    // 0000000096A4: 92524752
	s_mul_i32 s61, s60, s61                                    // 0000000096A8: 923D3D3C
	s_add_u32 s82, s82, s61                                    // 0000000096AC: 80523D52
	v_mul_lo_u32 v6, v5, s82                                   // 0000000096B0: D2850006 0000A505
	v_readlane_b32 s82, v3, 15                                 // 0000000096B8: D2890052 00011F03
	s_lshr_b32 s61, s82, 24                                    // 0000000096C0: 8F3D9852
	s_and_b32 s82, s82, 0xffffff                               // 0000000096C4: 8652FF52 00FFFFFF
	s_mul_i32 s82, s82, s71                                    // 0000000096CC: 92524752
	s_mul_i32 s61, s60, s61                                    // 0000000096D0: 923D3D3C
	s_add_u32 s82, s82, s61                                    // 0000000096D4: 80523D52
	v_mul_lo_u32 v7, v4, s82                                   // 0000000096D8: D2850007 0000A504
	v_add_u32_e32 v73, v6, v7                                  // 0000000096E0: 68920F06
	v_readlane_b32 s82, v3, 16                                 // 0000000096E4: D2890052 00012103
	s_lshr_b32 s61, s82, 24                                    // 0000000096EC: 8F3D9852
	s_and_b32 s82, s82, 0xffffff                               // 0000000096F0: 8652FF52 00FFFFFF
	s_mul_i32 s82, s82, s71                                    // 0000000096F8: 92524752
	s_mul_i32 s61, s60, s61                                    // 0000000096FC: 923D3D3C
	s_add_u32 s82, s82, s61                                    // 000000009700: 80523D52
	v_mul_lo_u32 v6, v5, s82                                   // 000000009704: D2850006 0000A505
	v_readlane_b32 s82, v3, 17                                 // 00000000970C: D2890052 00012303
	s_lshr_b32 s61, s82, 24                                    // 000000009714: 8F3D9852
	s_and_b32 s82, s82, 0xffffff                               // 000000009718: 8652FF52 00FFFFFF
	s_mul_i32 s82, s82, s71                                    // 000000009720: 92524752
	s_mul_i32 s61, s60, s61                                    // 000000009724: 923D3D3C
	s_add_u32 s82, s82, s61                                    // 000000009728: 80523D52
	v_mul_lo_u32 v7, v4, s82                                   // 00000000972C: D2850007 0000A504
	v_add_u32_e32 v74, v6, v7                                  // 000000009734: 68940F06
	v_readlane_b32 s82, v3, 18                                 // 000000009738: D2890052 00012503
	s_lshr_b32 s61, s82, 24                                    // 000000009740: 8F3D9852
	s_and_b32 s82, s82, 0xffffff                               // 000000009744: 8652FF52 00FFFFFF
	s_mul_i32 s82, s82, s71                                    // 00000000974C: 92524752
	s_mul_i32 s61, s60, s61                                    // 000000009750: 923D3D3C
	s_add_u32 s82, s82, s61                                    // 000000009754: 80523D52
	v_mul_lo_u32 v6, v5, s82                                   // 000000009758: D2850006 0000A505
	v_readlane_b32 s82, v3, 19                                 // 000000009760: D2890052 00012703
	s_lshr_b32 s61, s82, 24                                    // 000000009768: 8F3D9852
	s_and_b32 s82, s82, 0xffffff                               // 00000000976C: 8652FF52 00FFFFFF
	s_mul_i32 s82, s82, s71                                    // 000000009774: 92524752
	s_mul_i32 s61, s60, s61                                    // 000000009778: 923D3D3C
	s_add_u32 s82, s82, s61                                    // 00000000977C: 80523D52
	v_mul_lo_u32 v7, v4, s82                                   // 000000009780: D2850007 0000A504
	v_add_u32_e32 v75, v6, v7                                  // 000000009788: 68960F06
	v_readlane_b32 s82, v3, 20                                 // 00000000978C: D2890052 00012903
	s_lshr_b32 s61, s82, 24                                    // 000000009794: 8F3D9852
	s_and_b32 s82, s82, 0xffffff                               // 000000009798: 8652FF52 00FFFFFF
	s_mul_i32 s82, s82, s71                                    // 0000000097A0: 92524752
	s_mul_i32 s61, s60, s61                                    // 0000000097A4: 923D3D3C
	s_add_u32 s82, s82, s61                                    // 0000000097A8: 80523D52
	v_mul_lo_u32 v6, v5, s82                                   // 0000000097AC: D2850006 0000A505
	v_readlane_b32 s82, v3, 21                                 // 0000000097B4: D2890052 00012B03
	s_lshr_b32 s61, s82, 24                                    // 0000000097BC: 8F3D9852
	s_and_b32 s82, s82, 0xffffff                               // 0000000097C0: 8652FF52 00FFFFFF
	s_mul_i32 s82, s82, s71                                    // 0000000097C8: 92524752
	s_mul_i32 s61, s60, s61                                    // 0000000097CC: 923D3D3C
	s_add_u32 s82, s82, s61                                    // 0000000097D0: 80523D52
	v_mul_lo_u32 v7, v4, s82                                   // 0000000097D4: D2850007 0000A504
	v_add_u32_e32 v76, v6, v7                                  // 0000000097DC: 68980F06
	v_readlane_b32 s82, v3, 22                                 // 0000000097E0: D2890052 00012D03
	s_lshr_b32 s61, s82, 24                                    // 0000000097E8: 8F3D9852
	s_and_b32 s82, s82, 0xffffff                               // 0000000097EC: 8652FF52 00FFFFFF
	s_mul_i32 s82, s82, s71                                    // 0000000097F4: 92524752
	s_mul_i32 s61, s60, s61                                    // 0000000097F8: 923D3D3C
	s_add_u32 s82, s82, s61                                    // 0000000097FC: 80523D52
	v_mul_lo_u32 v6, v5, s82                                   // 000000009800: D2850006 0000A505
	v_readlane_b32 s82, v3, 23                                 // 000000009808: D2890052 00012F03
	s_lshr_b32 s61, s82, 24                                    // 000000009810: 8F3D9852
	s_and_b32 s82, s82, 0xffffff                               // 000000009814: 8652FF52 00FFFFFF
	s_mul_i32 s82, s82, s71                                    // 00000000981C: 92524752
	s_mul_i32 s61, s60, s61                                    // 000000009820: 923D3D3C
	s_add_u32 s82, s82, s61                                    // 000000009824: 80523D52
	v_mul_lo_u32 v7, v4, s82                                   // 000000009828: D2850007 0000A504
	v_add_u32_e32 v77, v6, v7                                  // 000000009830: 689A0F06
	v_readlane_b32 s82, v3, 24                                 // 000000009834: D2890052 00013103
	s_lshr_b32 s61, s82, 24                                    // 00000000983C: 8F3D9852
	s_and_b32 s82, s82, 0xffffff                               // 000000009840: 8652FF52 00FFFFFF
	s_mul_i32 s82, s82, s71                                    // 000000009848: 92524752
	s_mul_i32 s61, s60, s61                                    // 00000000984C: 923D3D3C
	s_add_u32 s82, s82, s61                                    // 000000009850: 80523D52
	v_mul_lo_u32 v6, v5, s82                                   // 000000009854: D2850006 0000A505
	v_readlane_b32 s82, v3, 25                                 // 00000000985C: D2890052 00013303
	s_lshr_b32 s61, s82, 24                                    // 000000009864: 8F3D9852
	s_and_b32 s82, s82, 0xffffff                               // 000000009868: 8652FF52 00FFFFFF
	s_mul_i32 s82, s82, s71                                    // 000000009870: 92524752
	s_mul_i32 s61, s60, s61                                    // 000000009874: 923D3D3C
	s_add_u32 s82, s82, s61                                    // 000000009878: 80523D52
	v_mul_lo_u32 v7, v4, s82                                   // 00000000987C: D2850007 0000A504
	v_add_u32_e32 v78, v6, v7                                  // 000000009884: 689C0F06
	v_readlane_b32 s82, v3, 26                                 // 000000009888: D2890052 00013503
	s_lshr_b32 s61, s82, 24                                    // 000000009890: 8F3D9852
	s_and_b32 s82, s82, 0xffffff                               // 000000009894: 8652FF52 00FFFFFF
	s_mul_i32 s82, s82, s71                                    // 00000000989C: 92524752
	s_mul_i32 s61, s60, s61                                    // 0000000098A0: 923D3D3C
	s_add_u32 s82, s82, s61                                    // 0000000098A4: 80523D52
	v_mul_lo_u32 v6, v5, s82                                   // 0000000098A8: D2850006 0000A505
	v_readlane_b32 s82, v3, 27                                 // 0000000098B0: D2890052 00013703
	s_lshr_b32 s61, s82, 24                                    // 0000000098B8: 8F3D9852
	s_and_b32 s82, s82, 0xffffff                               // 0000000098BC: 8652FF52 00FFFFFF
	s_mul_i32 s82, s82, s71                                    // 0000000098C4: 92524752
	s_mul_i32 s61, s60, s61                                    // 0000000098C8: 923D3D3C
	s_add_u32 s82, s82, s61                                    // 0000000098CC: 80523D52
	v_mul_lo_u32 v7, v4, s82                                   // 0000000098D0: D2850007 0000A504
	v_add_u32_e32 v79, v6, v7                                  // 0000000098D8: 689E0F06
	v_readlane_b32 s82, v3, 28                                 // 0000000098DC: D2890052 00013903
	s_lshr_b32 s61, s82, 24                                    // 0000000098E4: 8F3D9852
	s_and_b32 s82, s82, 0xffffff                               // 0000000098E8: 8652FF52 00FFFFFF
	s_mul_i32 s82, s82, s71                                    // 0000000098F0: 92524752
	s_mul_i32 s61, s60, s61                                    // 0000000098F4: 923D3D3C
	s_add_u32 s82, s82, s61                                    // 0000000098F8: 80523D52
	v_mul_lo_u32 v6, v5, s82                                   // 0000000098FC: D2850006 0000A505
	v_readlane_b32 s82, v3, 29                                 // 000000009904: D2890052 00013B03
	s_lshr_b32 s61, s82, 24                                    // 00000000990C: 8F3D9852
	s_and_b32 s82, s82, 0xffffff                               // 000000009910: 8652FF52 00FFFFFF
	s_mul_i32 s82, s82, s71                                    // 000000009918: 92524752
	s_mul_i32 s61, s60, s61                                    // 00000000991C: 923D3D3C
	s_add_u32 s82, s82, s61                                    // 000000009920: 80523D52
	v_mul_lo_u32 v7, v4, s82                                   // 000000009924: D2850007 0000A504
	v_add_u32_e32 v80, v6, v7                                  // 00000000992C: 68A00F06
	v_readlane_b32 s82, v3, 30                                 // 000000009930: D2890052 00013D03
	s_lshr_b32 s61, s82, 24                                    // 000000009938: 8F3D9852
	s_and_b32 s82, s82, 0xffffff                               // 00000000993C: 8652FF52 00FFFFFF
	s_mul_i32 s82, s82, s71                                    // 000000009944: 92524752
	s_mul_i32 s61, s60, s61                                    // 000000009948: 923D3D3C
	s_add_u32 s82, s82, s61                                    // 00000000994C: 80523D52
	v_mul_lo_u32 v6, v5, s82                                   // 000000009950: D2850006 0000A505
	v_readlane_b32 s82, v3, 31                                 // 000000009958: D2890052 00013F03
	s_lshr_b32 s61, s82, 24                                    // 000000009960: 8F3D9852
	s_and_b32 s82, s82, 0xffffff                               // 000000009964: 8652FF52 00FFFFFF
	s_mul_i32 s82, s82, s71                                    // 00000000996C: 92524752
	s_mul_i32 s61, s60, s61                                    // 000000009970: 923D3D3C
	s_add_u32 s82, s82, s61                                    // 000000009974: 80523D52
	v_mul_lo_u32 v7, v4, s82                                   // 000000009978: D2850007 0000A504
	v_add_u32_e32 v81, v6, v7                                  // 000000009980: 68A20F06
	v_readlane_b32 s82, v3, 32                                 // 000000009984: D2890052 00014103
	s_lshr_b32 s61, s82, 24                                    // 00000000998C: 8F3D9852
	s_and_b32 s82, s82, 0xffffff                               // 000000009990: 8652FF52 00FFFFFF
	s_mul_i32 s82, s82, s71                                    // 000000009998: 92524752
	s_mul_i32 s61, s60, s61                                    // 00000000999C: 923D3D3C
	s_add_u32 s82, s82, s61                                    // 0000000099A0: 80523D52
	v_mul_lo_u32 v6, v5, s82                                   // 0000000099A4: D2850006 0000A505
	v_readlane_b32 s82, v3, 33                                 // 0000000099AC: D2890052 00014303
	s_lshr_b32 s61, s82, 24                                    // 0000000099B4: 8F3D9852
	s_and_b32 s82, s82, 0xffffff                               // 0000000099B8: 8652FF52 00FFFFFF
	s_mul_i32 s82, s82, s71                                    // 0000000099C0: 92524752
	s_mul_i32 s61, s60, s61                                    // 0000000099C4: 923D3D3C
	s_add_u32 s82, s82, s61                                    // 0000000099C8: 80523D52
	v_mul_lo_u32 v7, v4, s82                                   // 0000000099CC: D2850007 0000A504
	v_add_u32_e32 v82, v6, v7                                  // 0000000099D4: 68A40F06
	v_readlane_b32 s82, v3, 34                                 // 0000000099D8: D2890052 00014503
	s_lshr_b32 s61, s82, 24                                    // 0000000099E0: 8F3D9852
	s_and_b32 s82, s82, 0xffffff                               // 0000000099E4: 8652FF52 00FFFFFF
	s_mul_i32 s82, s82, s71                                    // 0000000099EC: 92524752
	s_mul_i32 s61, s60, s61                                    // 0000000099F0: 923D3D3C
	s_add_u32 s82, s82, s61                                    // 0000000099F4: 80523D52
	v_mul_lo_u32 v6, v5, s82                                   // 0000000099F8: D2850006 0000A505
	v_readlane_b32 s82, v3, 35                                 // 000000009A00: D2890052 00014703
	s_lshr_b32 s61, s82, 24                                    // 000000009A08: 8F3D9852
	s_and_b32 s82, s82, 0xffffff                               // 000000009A0C: 8652FF52 00FFFFFF
	s_mul_i32 s82, s82, s71                                    // 000000009A14: 92524752
	s_mul_i32 s61, s60, s61                                    // 000000009A18: 923D3D3C
	s_add_u32 s82, s82, s61                                    // 000000009A1C: 80523D52
	v_mul_lo_u32 v7, v4, s82                                   // 000000009A20: D2850007 0000A504
	v_add_u32_e32 v83, v6, v7                                  // 000000009A28: 68A60F06
	v_and_b32_e32 v4, 31, v0                                   // 000000009A2C: 2608009F
	v_lshrrev_b32_e32 v4, 1, v4                                // 000000009A30: 20080881
	s_cmp_eq_u32 s88, 0                                        // 000000009A34: BF068058
	s_cselect_b32 s61, 2, 4                                    // 000000009A38: 853D8482
	v_mul_lo_u32 v4, v4, s61                                   // 000000009A3C: D2850004 00007B04
	v_and_b32_e64 v5, v0, 1                                    // 000000009A44: D1130005 00010300
	v_add_u32_e32 v4, v4, v5                                   // 000000009A4C: 68080B04
	v_lshlrev_b32_e32 v4, 2, v4                                // 000000009A50: 24080882
	v_add_u32_e32 v66, v66, v4                                 // 000000009A54: 68840942
	v_add_u32_e32 v67, v67, v4                                 // 000000009A58: 68860943
	v_add_u32_e32 v68, v68, v4                                 // 000000009A5C: 68880944
	v_add_u32_e32 v69, v69, v4                                 // 000000009A60: 688A0945
	v_add_u32_e32 v70, v70, v4                                 // 000000009A64: 688C0946
	v_add_u32_e32 v71, v71, v4                                 // 000000009A68: 688E0947
	v_add_u32_e32 v72, v72, v4                                 // 000000009A6C: 68900948
	v_add_u32_e32 v73, v73, v4                                 // 000000009A70: 68920949
	v_add_u32_e32 v74, v74, v4                                 // 000000009A74: 6894094A
	v_add_u32_e32 v75, v75, v4                                 // 000000009A78: 6896094B
	v_add_u32_e32 v76, v76, v4                                 // 000000009A7C: 6898094C
	v_add_u32_e32 v77, v77, v4                                 // 000000009A80: 689A094D
	v_add_u32_e32 v78, v78, v4                                 // 000000009A84: 689C094E
	v_add_u32_e32 v79, v79, v4                                 // 000000009A88: 689E094F
	v_add_u32_e32 v80, v80, v4                                 // 000000009A8C: 68A00950
	v_add_u32_e32 v81, v81, v4                                 // 000000009A90: 68A20951
	v_add_u32_e32 v82, v82, v4                                 // 000000009A94: 68A40952
	v_add_u32_e32 v83, v83, v4                                 // 000000009A98: 68A60953
	s_waitcnt lgkmcnt(0)                                       // 000000009A9C: BF8CC07F
	s_barrier                                                  // 000000009AA0: BF8A0000
	ds_read_b32 v88, v21                                       // 000000009AA4: D86C0000 58000015
	ds_read_b32 v89, v21 offset:64                             // 000000009AAC: D86C0040 59000015
	ds_read_b32 v92, v21 offset:2176                           // 000000009AB4: D86C0880 5C000015
	ds_read_b32 v93, v21 offset:2240                           // 000000009ABC: D86C08C0 5D000015
	ds_read_b32 v96, v21 offset:4352                           // 000000009AC4: D86C1100 60000015
	ds_read_b32 v97, v21 offset:4416                           // 000000009ACC: D86C1140 61000015
	ds_read_b32 v100, v21 offset:6528                          // 000000009AD4: D86C1980 64000015
	ds_read_b32 v101, v21 offset:6592                          // 000000009ADC: D86C19C0 65000015
	ds_read_b32 v104, v21 offset:8704                          // 000000009AE4: D86C2200 68000015
	ds_read_b32 v105, v21 offset:8768                          // 000000009AEC: D86C2240 69000015
	ds_read_b32 v108, v21 offset:10880                         // 000000009AF4: D86C2A80 6C000015
	ds_read_b32 v109, v21 offset:10944                         // 000000009AFC: D86C2AC0 6D000015
	ds_read_b32 v112, v21 offset:13056                         // 000000009B04: D86C3300 70000015
	ds_read_b32 v113, v21 offset:13120                         // 000000009B0C: D86C3340 71000015
	ds_read_b32 v116, v21 offset:15232                         // 000000009B14: D86C3B80 74000015
	ds_read_b32 v117, v21 offset:15296                         // 000000009B1C: D86C3BC0 75000015
	ds_read_b32 v120, v21 offset:17408                         // 000000009B24: D86C4400 78000015
	ds_read_b32 v121, v21 offset:17472                         // 000000009B2C: D86C4440 79000015
	ds_read_b32 v124, v21 offset:19584                         // 000000009B34: D86C4C80 7C000015
	ds_read_b32 v125, v21 offset:19648                         // 000000009B3C: D86C4CC0 7D000015
	ds_read_b32 v128, v21 offset:21760                         // 000000009B44: D86C5500 80000015
	ds_read_b32 v129, v21 offset:21824                         // 000000009B4C: D86C5540 81000015
	ds_read_b32 v132, v21 offset:23936                         // 000000009B54: D86C5D80 84000015
	ds_read_b32 v133, v21 offset:24000                         // 000000009B5C: D86C5DC0 85000015
	ds_read_b32 v136, v21 offset:26112                         // 000000009B64: D86C6600 88000015
	ds_read_b32 v137, v21 offset:26176                         // 000000009B6C: D86C6640 89000015
	ds_read_b32 v140, v21 offset:28288                         // 000000009B74: D86C6E80 8C000015
	ds_read_b32 v141, v21 offset:28352                         // 000000009B7C: D86C6EC0 8D000015
	ds_read_b32 v144, v21 offset:30464                         // 000000009B84: D86C7700 90000015
	ds_read_b32 v145, v21 offset:30528                         // 000000009B8C: D86C7740 91000015
	ds_read_b32 v148, v21 offset:32640                         // 000000009B94: D86C7F80 94000015
	ds_read_b32 v149, v21 offset:32704                         // 000000009B9C: D86C7FC0 95000015
	ds_read_b32 v152, v21 offset:34816                         // 000000009BA4: D86C8800 98000015
	ds_read_b32 v153, v21 offset:34880                         // 000000009BAC: D86C8840 99000015
	ds_read_b32 v156, v21 offset:36992                         // 000000009BB4: D86C9080 9C000015
	ds_read_b32 v157, v21 offset:37056                         // 000000009BBC: D86C90C0 9D000015
	s_waitcnt lgkmcnt(0)                                       // 000000009BC4: BF8CC07F
	s_mov_b32 s36, -1                                          // 000000009BC8: BEA400C1
	s_mov_b32 s37, -1                                          // 000000009BCC: BEA500C1
	v_mov_b32_e32 v7, 0                                        // 000000009BD0: 7E0E0280
	s_mov_b64 exec, s[36:37]                                   // 000000009BD4: BEFE0124
	v_mov_b32_e32 v6, v66                                      // 000000009BD8: 7E0C0342
	s_mov_b64 s[60:61], 0                                      // 000000009BDC: BEBC0180
	v_readlane_b32 s82, v3, 0                                  // 000000009BE0: D2890052 00010103
	s_and_b32 s82, s82, 0xffffff                               // 000000009BE8: 8652FF52 00FFFFFF
	s_cmp_lt_u32 s82, s66                                      // 000000009BF0: BF0A4252
	s_cselect_b32 s20, s36, s60                                // 000000009BF4: 85143C24
	v_readlane_b32 s82, v3, 1                                  // 000000009BF8: D2890052 00010303
	s_and_b32 s82, s82, 0xffffff                               // 000000009C00: 8652FF52 00FFFFFF
	s_cmp_lt_u32 s82, s66                                      // 000000009C08: BF0A4252
	s_cselect_b32 s21, s36, s60                                // 000000009C0C: 85153C24
	s_mov_b64 exec, s[20:21]                                   // 000000009C10: BEFE0114
	global_atomic_add_f32 v6, v88, s[8:9]                      // 000000009C14: DD348000 00085806
	global_atomic_add_f32 v6, v92, s[8:9] offset:256           // 000000009C1C: DD348100 00085C06
	s_mov_b64 exec, s[36:37]                                   // 000000009C24: BEFE0124
	v_mov_b32_e32 v6, v67                                      // 000000009C28: 7E0C0343
	s_mov_b64 s[60:61], 0                                      // 000000009C2C: BEBC0180
	v_readlane_b32 s82, v3, 2                                  // 000000009C30: D2890052 00010503
	s_and_b32 s82, s82, 0xffffff                               // 000000009C38: 8652FF52 00FFFFFF
	s_cmp_lt_u32 s82, s66                                      // 000000009C40: BF0A4252
	s_cselect_b32 s20, s36, s60                                // 000000009C44: 85143C24
	v_readlane_b32 s82, v3, 3                                  // 000000009C48: D2890052 00010703
	s_and_b32 s82, s82, 0xffffff                               // 000000009C50: 8652FF52 00FFFFFF
	s_cmp_lt_u32 s82, s66                                      // 000000009C58: BF0A4252
	s_cselect_b32 s21, s36, s60                                // 000000009C5C: 85153C24
	s_mov_b64 exec, s[20:21]                                   // 000000009C60: BEFE0114
	global_atomic_add_f32 v6, v89, s[8:9]                      // 000000009C64: DD348000 00085906
	global_atomic_add_f32 v6, v93, s[8:9] offset:256           // 000000009C6C: DD348100 00085D06
	s_mov_b64 exec, s[36:37]                                   // 000000009C74: BEFE0124
	v_mov_b32_e32 v6, v68                                      // 000000009C78: 7E0C0344
	s_mov_b64 s[60:61], 0                                      // 000000009C7C: BEBC0180
	v_readlane_b32 s82, v3, 4                                  // 000000009C80: D2890052 00010903
	s_and_b32 s82, s82, 0xffffff                               // 000000009C88: 8652FF52 00FFFFFF
	s_cmp_lt_u32 s82, s66                                      // 000000009C90: BF0A4252
	s_cselect_b32 s20, s36, s60                                // 000000009C94: 85143C24
	v_readlane_b32 s82, v3, 5                                  // 000000009C98: D2890052 00010B03
	s_and_b32 s82, s82, 0xffffff                               // 000000009CA0: 8652FF52 00FFFFFF
	s_cmp_lt_u32 s82, s66                                      // 000000009CA8: BF0A4252
	s_cselect_b32 s21, s36, s60                                // 000000009CAC: 85153C24
	s_mov_b64 exec, s[20:21]                                   // 000000009CB0: BEFE0114
	global_atomic_add_f32 v6, v96, s[8:9]                      // 000000009CB4: DD348000 00086006
	global_atomic_add_f32 v6, v100, s[8:9] offset:256          // 000000009CBC: DD348100 00086406
	s_mov_b64 exec, s[36:37]                                   // 000000009CC4: BEFE0124
	v_mov_b32_e32 v6, v69                                      // 000000009CC8: 7E0C0345
	s_mov_b64 s[60:61], 0                                      // 000000009CCC: BEBC0180
	v_readlane_b32 s82, v3, 6                                  // 000000009CD0: D2890052 00010D03
	s_and_b32 s82, s82, 0xffffff                               // 000000009CD8: 8652FF52 00FFFFFF
	s_cmp_lt_u32 s82, s66                                      // 000000009CE0: BF0A4252
	s_cselect_b32 s20, s36, s60                                // 000000009CE4: 85143C24
	v_readlane_b32 s82, v3, 7                                  // 000000009CE8: D2890052 00010F03
	s_and_b32 s82, s82, 0xffffff                               // 000000009CF0: 8652FF52 00FFFFFF
	s_cmp_lt_u32 s82, s66                                      // 000000009CF8: BF0A4252
	s_cselect_b32 s21, s36, s60                                // 000000009CFC: 85153C24
	s_mov_b64 exec, s[20:21]                                   // 000000009D00: BEFE0114
	global_atomic_add_f32 v6, v97, s[8:9]                      // 000000009D04: DD348000 00086106
	global_atomic_add_f32 v6, v101, s[8:9] offset:256          // 000000009D0C: DD348100 00086506
	s_mov_b64 exec, s[36:37]                                   // 000000009D14: BEFE0124
	v_mov_b32_e32 v6, v70                                      // 000000009D18: 7E0C0346
	s_mov_b64 s[60:61], 0                                      // 000000009D1C: BEBC0180
	v_readlane_b32 s82, v3, 8                                  // 000000009D20: D2890052 00011103
	s_and_b32 s82, s82, 0xffffff                               // 000000009D28: 8652FF52 00FFFFFF
	s_cmp_lt_u32 s82, s66                                      // 000000009D30: BF0A4252
	s_cselect_b32 s20, s36, s60                                // 000000009D34: 85143C24
	v_readlane_b32 s82, v3, 9                                  // 000000009D38: D2890052 00011303
	s_and_b32 s82, s82, 0xffffff                               // 000000009D40: 8652FF52 00FFFFFF
	s_cmp_lt_u32 s82, s66                                      // 000000009D48: BF0A4252
	s_cselect_b32 s21, s36, s60                                // 000000009D4C: 85153C24
	s_mov_b64 exec, s[20:21]                                   // 000000009D50: BEFE0114
	global_atomic_add_f32 v6, v104, s[8:9]                     // 000000009D54: DD348000 00086806
	global_atomic_add_f32 v6, v108, s[8:9] offset:256          // 000000009D5C: DD348100 00086C06
	s_mov_b64 exec, s[36:37]                                   // 000000009D64: BEFE0124
	v_mov_b32_e32 v6, v71                                      // 000000009D68: 7E0C0347
	s_mov_b64 s[60:61], 0                                      // 000000009D6C: BEBC0180
	v_readlane_b32 s82, v3, 10                                 // 000000009D70: D2890052 00011503
	s_and_b32 s82, s82, 0xffffff                               // 000000009D78: 8652FF52 00FFFFFF
	s_cmp_lt_u32 s82, s66                                      // 000000009D80: BF0A4252
	s_cselect_b32 s20, s36, s60                                // 000000009D84: 85143C24
	v_readlane_b32 s82, v3, 11                                 // 000000009D88: D2890052 00011703
	s_and_b32 s82, s82, 0xffffff                               // 000000009D90: 8652FF52 00FFFFFF
	s_cmp_lt_u32 s82, s66                                      // 000000009D98: BF0A4252
	s_cselect_b32 s21, s36, s60                                // 000000009D9C: 85153C24
	s_mov_b64 exec, s[20:21]                                   // 000000009DA0: BEFE0114
	global_atomic_add_f32 v6, v105, s[8:9]                     // 000000009DA4: DD348000 00086906
	global_atomic_add_f32 v6, v109, s[8:9] offset:256          // 000000009DAC: DD348100 00086D06
	s_mov_b64 exec, s[36:37]                                   // 000000009DB4: BEFE0124
	v_mov_b32_e32 v6, v72                                      // 000000009DB8: 7E0C0348
	s_mov_b64 s[60:61], 0                                      // 000000009DBC: BEBC0180
	v_readlane_b32 s82, v3, 12                                 // 000000009DC0: D2890052 00011903
	s_and_b32 s82, s82, 0xffffff                               // 000000009DC8: 8652FF52 00FFFFFF
	s_cmp_lt_u32 s82, s66                                      // 000000009DD0: BF0A4252
	s_cselect_b32 s20, s36, s60                                // 000000009DD4: 85143C24
	v_readlane_b32 s82, v3, 13                                 // 000000009DD8: D2890052 00011B03
	s_and_b32 s82, s82, 0xffffff                               // 000000009DE0: 8652FF52 00FFFFFF
	s_cmp_lt_u32 s82, s66                                      // 000000009DE8: BF0A4252
	s_cselect_b32 s21, s36, s60                                // 000000009DEC: 85153C24
	s_mov_b64 exec, s[20:21]                                   // 000000009DF0: BEFE0114
	global_atomic_add_f32 v6, v112, s[8:9]                     // 000000009DF4: DD348000 00087006
	global_atomic_add_f32 v6, v116, s[8:9] offset:256          // 000000009DFC: DD348100 00087406
	s_mov_b64 exec, s[36:37]                                   // 000000009E04: BEFE0124
	v_mov_b32_e32 v6, v73                                      // 000000009E08: 7E0C0349
	s_mov_b64 s[60:61], 0                                      // 000000009E0C: BEBC0180
	v_readlane_b32 s82, v3, 14                                 // 000000009E10: D2890052 00011D03
	s_and_b32 s82, s82, 0xffffff                               // 000000009E18: 8652FF52 00FFFFFF
	s_cmp_lt_u32 s82, s66                                      // 000000009E20: BF0A4252
	s_cselect_b32 s20, s36, s60                                // 000000009E24: 85143C24
	v_readlane_b32 s82, v3, 15                                 // 000000009E28: D2890052 00011F03
	s_and_b32 s82, s82, 0xffffff                               // 000000009E30: 8652FF52 00FFFFFF
	s_cmp_lt_u32 s82, s66                                      // 000000009E38: BF0A4252
	s_cselect_b32 s21, s36, s60                                // 000000009E3C: 85153C24
	s_mov_b64 exec, s[20:21]                                   // 000000009E40: BEFE0114
	global_atomic_add_f32 v6, v113, s[8:9]                     // 000000009E44: DD348000 00087106
	global_atomic_add_f32 v6, v117, s[8:9] offset:256          // 000000009E4C: DD348100 00087506
	s_mov_b64 exec, s[36:37]                                   // 000000009E54: BEFE0124
	v_mov_b32_e32 v6, v74                                      // 000000009E58: 7E0C034A
	s_mov_b64 s[60:61], 0                                      // 000000009E5C: BEBC0180
	v_readlane_b32 s82, v3, 16                                 // 000000009E60: D2890052 00012103
	s_and_b32 s82, s82, 0xffffff                               // 000000009E68: 8652FF52 00FFFFFF
	s_cmp_lt_u32 s82, s66                                      // 000000009E70: BF0A4252
	s_cselect_b32 s20, s36, s60                                // 000000009E74: 85143C24
	v_readlane_b32 s82, v3, 17                                 // 000000009E78: D2890052 00012303
	s_and_b32 s82, s82, 0xffffff                               // 000000009E80: 8652FF52 00FFFFFF
	s_cmp_lt_u32 s82, s66                                      // 000000009E88: BF0A4252
	s_cselect_b32 s21, s36, s60                                // 000000009E8C: 85153C24
	s_mov_b64 exec, s[20:21]                                   // 000000009E90: BEFE0114
	global_atomic_add_f32 v6, v120, s[8:9]                     // 000000009E94: DD348000 00087806
	global_atomic_add_f32 v6, v124, s[8:9] offset:256          // 000000009E9C: DD348100 00087C06
	s_mov_b64 exec, s[36:37]                                   // 000000009EA4: BEFE0124
	v_mov_b32_e32 v6, v75                                      // 000000009EA8: 7E0C034B
	s_mov_b64 s[60:61], 0                                      // 000000009EAC: BEBC0180
	v_readlane_b32 s82, v3, 18                                 // 000000009EB0: D2890052 00012503
	s_and_b32 s82, s82, 0xffffff                               // 000000009EB8: 8652FF52 00FFFFFF
	s_cmp_lt_u32 s82, s66                                      // 000000009EC0: BF0A4252
	s_cselect_b32 s20, s36, s60                                // 000000009EC4: 85143C24
	v_readlane_b32 s82, v3, 19                                 // 000000009EC8: D2890052 00012703
	s_and_b32 s82, s82, 0xffffff                               // 000000009ED0: 8652FF52 00FFFFFF
	s_cmp_lt_u32 s82, s66                                      // 000000009ED8: BF0A4252
	s_cselect_b32 s21, s36, s60                                // 000000009EDC: 85153C24
	s_mov_b64 exec, s[20:21]                                   // 000000009EE0: BEFE0114
	global_atomic_add_f32 v6, v121, s[8:9]                     // 000000009EE4: DD348000 00087906
	global_atomic_add_f32 v6, v125, s[8:9] offset:256          // 000000009EEC: DD348100 00087D06
	s_mov_b64 exec, s[36:37]                                   // 000000009EF4: BEFE0124
	v_mov_b32_e32 v6, v76                                      // 000000009EF8: 7E0C034C
	s_mov_b64 s[60:61], 0                                      // 000000009EFC: BEBC0180
	v_readlane_b32 s82, v3, 20                                 // 000000009F00: D2890052 00012903
	s_and_b32 s82, s82, 0xffffff                               // 000000009F08: 8652FF52 00FFFFFF
	s_cmp_lt_u32 s82, s66                                      // 000000009F10: BF0A4252
	s_cselect_b32 s20, s36, s60                                // 000000009F14: 85143C24
	v_readlane_b32 s82, v3, 21                                 // 000000009F18: D2890052 00012B03
	s_and_b32 s82, s82, 0xffffff                               // 000000009F20: 8652FF52 00FFFFFF
	s_cmp_lt_u32 s82, s66                                      // 000000009F28: BF0A4252
	s_cselect_b32 s21, s36, s60                                // 000000009F2C: 85153C24
	s_mov_b64 exec, s[20:21]                                   // 000000009F30: BEFE0114
	global_atomic_add_f32 v6, v128, s[8:9]                     // 000000009F34: DD348000 00088006
	global_atomic_add_f32 v6, v132, s[8:9] offset:256          // 000000009F3C: DD348100 00088406
	s_mov_b64 exec, s[36:37]                                   // 000000009F44: BEFE0124
	v_mov_b32_e32 v6, v77                                      // 000000009F48: 7E0C034D
	s_mov_b64 s[60:61], 0                                      // 000000009F4C: BEBC0180
	v_readlane_b32 s82, v3, 22                                 // 000000009F50: D2890052 00012D03
	s_and_b32 s82, s82, 0xffffff                               // 000000009F58: 8652FF52 00FFFFFF
	s_cmp_lt_u32 s82, s66                                      // 000000009F60: BF0A4252
	s_cselect_b32 s20, s36, s60                                // 000000009F64: 85143C24
	v_readlane_b32 s82, v3, 23                                 // 000000009F68: D2890052 00012F03
	s_and_b32 s82, s82, 0xffffff                               // 000000009F70: 8652FF52 00FFFFFF
	s_cmp_lt_u32 s82, s66                                      // 000000009F78: BF0A4252
	s_cselect_b32 s21, s36, s60                                // 000000009F7C: 85153C24
	s_mov_b64 exec, s[20:21]                                   // 000000009F80: BEFE0114
	global_atomic_add_f32 v6, v129, s[8:9]                     // 000000009F84: DD348000 00088106
	global_atomic_add_f32 v6, v133, s[8:9] offset:256          // 000000009F8C: DD348100 00088506
	s_mov_b64 exec, s[36:37]                                   // 000000009F94: BEFE0124
	v_mov_b32_e32 v6, v78                                      // 000000009F98: 7E0C034E
	s_mov_b64 s[60:61], 0                                      // 000000009F9C: BEBC0180
	v_readlane_b32 s82, v3, 24                                 // 000000009FA0: D2890052 00013103
	s_and_b32 s82, s82, 0xffffff                               // 000000009FA8: 8652FF52 00FFFFFF
	s_cmp_lt_u32 s82, s66                                      // 000000009FB0: BF0A4252
	s_cselect_b32 s20, s36, s60                                // 000000009FB4: 85143C24
	v_readlane_b32 s82, v3, 25                                 // 000000009FB8: D2890052 00013303
	s_and_b32 s82, s82, 0xffffff                               // 000000009FC0: 8652FF52 00FFFFFF
	s_cmp_lt_u32 s82, s66                                      // 000000009FC8: BF0A4252
	s_cselect_b32 s21, s36, s60                                // 000000009FCC: 85153C24
	s_mov_b64 exec, s[20:21]                                   // 000000009FD0: BEFE0114
	global_atomic_add_f32 v6, v136, s[8:9]                     // 000000009FD4: DD348000 00088806
	global_atomic_add_f32 v6, v140, s[8:9] offset:256          // 000000009FDC: DD348100 00088C06
	s_mov_b64 exec, s[36:37]                                   // 000000009FE4: BEFE0124
	v_mov_b32_e32 v6, v79                                      // 000000009FE8: 7E0C034F
	s_mov_b64 s[60:61], 0                                      // 000000009FEC: BEBC0180
	v_readlane_b32 s82, v3, 26                                 // 000000009FF0: D2890052 00013503
	s_and_b32 s82, s82, 0xffffff                               // 000000009FF8: 8652FF52 00FFFFFF
	s_cmp_lt_u32 s82, s66                                      // 00000000A000: BF0A4252
	s_cselect_b32 s20, s36, s60                                // 00000000A004: 85143C24
	v_readlane_b32 s82, v3, 27                                 // 00000000A008: D2890052 00013703
	s_and_b32 s82, s82, 0xffffff                               // 00000000A010: 8652FF52 00FFFFFF
	s_cmp_lt_u32 s82, s66                                      // 00000000A018: BF0A4252
	s_cselect_b32 s21, s36, s60                                // 00000000A01C: 85153C24
	s_mov_b64 exec, s[20:21]                                   // 00000000A020: BEFE0114
	global_atomic_add_f32 v6, v137, s[8:9]                     // 00000000A024: DD348000 00088906
	global_atomic_add_f32 v6, v141, s[8:9] offset:256          // 00000000A02C: DD348100 00088D06
	s_mov_b64 exec, s[36:37]                                   // 00000000A034: BEFE0124
	v_mov_b32_e32 v6, v80                                      // 00000000A038: 7E0C0350
	s_mov_b64 s[60:61], 0                                      // 00000000A03C: BEBC0180
	v_readlane_b32 s82, v3, 28                                 // 00000000A040: D2890052 00013903
	s_and_b32 s82, s82, 0xffffff                               // 00000000A048: 8652FF52 00FFFFFF
	s_cmp_lt_u32 s82, s66                                      // 00000000A050: BF0A4252
	s_cselect_b32 s20, s36, s60                                // 00000000A054: 85143C24
	v_readlane_b32 s82, v3, 29                                 // 00000000A058: D2890052 00013B03
	s_and_b32 s82, s82, 0xffffff                               // 00000000A060: 8652FF52 00FFFFFF
	s_cmp_lt_u32 s82, s66                                      // 00000000A068: BF0A4252
	s_cselect_b32 s21, s36, s60                                // 00000000A06C: 85153C24
	s_mov_b64 exec, s[20:21]                                   // 00000000A070: BEFE0114
	global_atomic_add_f32 v6, v144, s[8:9]                     // 00000000A074: DD348000 00089006
	global_atomic_add_f32 v6, v148, s[8:9] offset:256          // 00000000A07C: DD348100 00089406
	s_mov_b64 exec, s[36:37]                                   // 00000000A084: BEFE0124
	v_mov_b32_e32 v6, v81                                      // 00000000A088: 7E0C0351
	s_mov_b64 s[60:61], 0                                      // 00000000A08C: BEBC0180
	v_readlane_b32 s82, v3, 30                                 // 00000000A090: D2890052 00013D03
	s_and_b32 s82, s82, 0xffffff                               // 00000000A098: 8652FF52 00FFFFFF
	s_cmp_lt_u32 s82, s66                                      // 00000000A0A0: BF0A4252
	s_cselect_b32 s20, s36, s60                                // 00000000A0A4: 85143C24
	v_readlane_b32 s82, v3, 31                                 // 00000000A0A8: D2890052 00013F03
	s_and_b32 s82, s82, 0xffffff                               // 00000000A0B0: 8652FF52 00FFFFFF
	s_cmp_lt_u32 s82, s66                                      // 00000000A0B8: BF0A4252
	s_cselect_b32 s21, s36, s60                                // 00000000A0BC: 85153C24
	s_mov_b64 exec, s[20:21]                                   // 00000000A0C0: BEFE0114
	global_atomic_add_f32 v6, v145, s[8:9]                     // 00000000A0C4: DD348000 00089106
	global_atomic_add_f32 v6, v149, s[8:9] offset:256          // 00000000A0CC: DD348100 00089506
	s_mov_b64 exec, s[36:37]                                   // 00000000A0D4: BEFE0124
	v_mov_b32_e32 v6, v82                                      // 00000000A0D8: 7E0C0352
	s_mov_b64 s[60:61], 0                                      // 00000000A0DC: BEBC0180
	v_readlane_b32 s82, v3, 32                                 // 00000000A0E0: D2890052 00014103
	s_and_b32 s82, s82, 0xffffff                               // 00000000A0E8: 8652FF52 00FFFFFF
	s_cmp_lt_u32 s82, s66                                      // 00000000A0F0: BF0A4252
	s_cselect_b32 s20, s36, s60                                // 00000000A0F4: 85143C24
	v_readlane_b32 s82, v3, 33                                 // 00000000A0F8: D2890052 00014303
	s_and_b32 s82, s82, 0xffffff                               // 00000000A100: 8652FF52 00FFFFFF
	s_cmp_lt_u32 s82, s66                                      // 00000000A108: BF0A4252
	s_cselect_b32 s21, s36, s60                                // 00000000A10C: 85153C24
	s_mov_b64 exec, s[20:21]                                   // 00000000A110: BEFE0114
	global_atomic_add_f32 v6, v152, s[8:9]                     // 00000000A114: DD348000 00089806
	global_atomic_add_f32 v6, v156, s[8:9] offset:256          // 00000000A11C: DD348100 00089C06
	s_mov_b64 exec, s[36:37]                                   // 00000000A124: BEFE0124
	v_mov_b32_e32 v6, v83                                      // 00000000A128: 7E0C0353
	s_mov_b64 s[60:61], 0                                      // 00000000A12C: BEBC0180
	v_readlane_b32 s82, v3, 34                                 // 00000000A130: D2890052 00014503
	s_and_b32 s82, s82, 0xffffff                               // 00000000A138: 8652FF52 00FFFFFF
	s_cmp_lt_u32 s82, s66                                      // 00000000A140: BF0A4252
	s_cselect_b32 s20, s36, s60                                // 00000000A144: 85143C24
	v_readlane_b32 s82, v3, 35                                 // 00000000A148: D2890052 00014703
	s_and_b32 s82, s82, 0xffffff                               // 00000000A150: 8652FF52 00FFFFFF
	s_cmp_lt_u32 s82, s66                                      // 00000000A158: BF0A4252
	s_cselect_b32 s21, s36, s60                                // 00000000A15C: 85153C24
	s_mov_b64 exec, s[20:21]                                   // 00000000A160: BEFE0114
	global_atomic_add_f32 v6, v153, s[8:9]                     // 00000000A164: DD348000 00089906
	global_atomic_add_f32 v6, v157, s[8:9] offset:256          // 00000000A16C: DD348100 00089D06
	s_mov_b64 exec, s[36:37]                                   // 00000000A174: BEFE0124
	ds_write_b64 v20, v[90:91]                                 // 00000000A178: D89A0000 00005A14
	ds_write_b64 v20, v[94:95] offset:4352                     // 00000000A180: D89A1100 00005E14
	ds_write_b64 v20, v[98:99] offset:8704                     // 00000000A188: D89A2200 00006214
	ds_write_b64 v20, v[102:103] offset:13056                  // 00000000A190: D89A3300 00006614
	ds_write_b64 v20, v[106:107] offset:17408                  // 00000000A198: D89A4400 00006A14
	ds_write_b64 v20, v[110:111] offset:21760                  // 00000000A1A0: D89A5500 00006E14
	ds_write_b64 v20, v[114:115] offset:26112                  // 00000000A1A8: D89A6600 00007214
	ds_write_b64 v20, v[118:119] offset:30464                  // 00000000A1B0: D89A7700 00007614
	ds_write_b64 v20, v[122:123] offset:34816                  // 00000000A1B8: D89A8800 00007A14
	ds_write_b64 v20, v[126:127] offset:2176                   // 00000000A1C0: D89A0880 00007E14
	ds_write_b64 v20, v[130:131] offset:6528                   // 00000000A1C8: D89A1980 00008214
	ds_write_b64 v20, v[134:135] offset:10880                  // 00000000A1D0: D89A2A80 00008614
	ds_write_b64 v20, v[138:139] offset:15232                  // 00000000A1D8: D89A3B80 00008A14
	ds_write_b64 v20, v[142:143] offset:19584                  // 00000000A1E0: D89A4C80 00008E14
	ds_write_b64 v20, v[146:147] offset:23936                  // 00000000A1E8: D89A5D80 00009214
	ds_write_b64 v20, v[150:151] offset:28288                  // 00000000A1F0: D89A6E80 00009614
	ds_write_b64 v20, v[154:155] offset:32640                  // 00000000A1F8: D89A7F80 00009A14
	ds_write_b64 v20, v[158:159] offset:36992                  // 00000000A200: D89A9080 00009E14
	s_waitcnt lgkmcnt(0)                                       // 00000000A208: BF8CC07F
	s_barrier                                                  // 00000000A20C: BF8A0000
	ds_read_b32 v90, v21                                       // 00000000A210: D86C0000 5A000015
	ds_read_b32 v91, v21 offset:64                             // 00000000A218: D86C0040 5B000015
	ds_read_b32 v94, v21 offset:2176                           // 00000000A220: D86C0880 5E000015
	ds_read_b32 v95, v21 offset:2240                           // 00000000A228: D86C08C0 5F000015
	ds_read_b32 v98, v21 offset:4352                           // 00000000A230: D86C1100 62000015
	ds_read_b32 v99, v21 offset:4416                           // 00000000A238: D86C1140 63000015
	ds_read_b32 v102, v21 offset:6528                          // 00000000A240: D86C1980 66000015
	ds_read_b32 v103, v21 offset:6592                          // 00000000A248: D86C19C0 67000015
	ds_read_b32 v106, v21 offset:8704                          // 00000000A250: D86C2200 6A000015
	ds_read_b32 v107, v21 offset:8768                          // 00000000A258: D86C2240 6B000015
	ds_read_b32 v110, v21 offset:10880                         // 00000000A260: D86C2A80 6E000015
	ds_read_b32 v111, v21 offset:10944                         // 00000000A268: D86C2AC0 6F000015
	ds_read_b32 v114, v21 offset:13056                         // 00000000A270: D86C3300 72000015
	ds_read_b32 v115, v21 offset:13120                         // 00000000A278: D86C3340 73000015
	ds_read_b32 v118, v21 offset:15232                         // 00000000A280: D86C3B80 76000015
	ds_read_b32 v119, v21 offset:15296                         // 00000000A288: D86C3BC0 77000015
	ds_read_b32 v122, v21 offset:17408                         // 00000000A290: D86C4400 7A000015
	ds_read_b32 v123, v21 offset:17472                         // 00000000A298: D86C4440 7B000015
	ds_read_b32 v126, v21 offset:19584                         // 00000000A2A0: D86C4C80 7E000015
	ds_read_b32 v127, v21 offset:19648                         // 00000000A2A8: D86C4CC0 7F000015
	ds_read_b32 v130, v21 offset:21760                         // 00000000A2B0: D86C5500 82000015
	ds_read_b32 v131, v21 offset:21824                         // 00000000A2B8: D86C5540 83000015
	ds_read_b32 v134, v21 offset:23936                         // 00000000A2C0: D86C5D80 86000015
	ds_read_b32 v135, v21 offset:24000                         // 00000000A2C8: D86C5DC0 87000015
	ds_read_b32 v138, v21 offset:26112                         // 00000000A2D0: D86C6600 8A000015
	ds_read_b32 v139, v21 offset:26176                         // 00000000A2D8: D86C6640 8B000015
	ds_read_b32 v142, v21 offset:28288                         // 00000000A2E0: D86C6E80 8E000015
	ds_read_b32 v143, v21 offset:28352                         // 00000000A2E8: D86C6EC0 8F000015
	ds_read_b32 v146, v21 offset:30464                         // 00000000A2F0: D86C7700 92000015
	ds_read_b32 v147, v21 offset:30528                         // 00000000A2F8: D86C7740 93000015
	ds_read_b32 v150, v21 offset:32640                         // 00000000A300: D86C7F80 96000015
	ds_read_b32 v151, v21 offset:32704                         // 00000000A308: D86C7FC0 97000015
	ds_read_b32 v154, v21 offset:34816                         // 00000000A310: D86C8800 9A000015
	ds_read_b32 v155, v21 offset:34880                         // 00000000A318: D86C8840 9B000015
	ds_read_b32 v158, v21 offset:36992                         // 00000000A320: D86C9080 9E000015
	ds_read_b32 v159, v21 offset:37056                         // 00000000A328: D86C90C0 9F000015
	s_waitcnt lgkmcnt(0)                                       // 00000000A330: BF8CC07F
	v_mov_b32_e32 v7, 0                                        // 00000000A334: 7E0E0280
	s_mov_b64 exec, s[36:37]                                   // 00000000A338: BEFE0124
	v_mov_b32_e32 v6, v66                                      // 00000000A33C: 7E0C0342
	s_mov_b64 s[60:61], 0                                      // 00000000A340: BEBC0180
	v_readlane_b32 s82, v3, 0                                  // 00000000A344: D2890052 00010103
	s_and_b32 s82, s82, 0xffffff                               // 00000000A34C: 8652FF52 00FFFFFF
	s_cmp_lt_u32 s82, s66                                      // 00000000A354: BF0A4252
	s_cselect_b32 s20, s36, s60                                // 00000000A358: 85143C24
	v_readlane_b32 s82, v3, 1                                  // 00000000A35C: D2890052 00010303
	s_and_b32 s82, s82, 0xffffff                               // 00000000A364: 8652FF52 00FFFFFF
	s_cmp_lt_u32 s82, s66                                      // 00000000A36C: BF0A4252
	s_cselect_b32 s21, s36, s60                                // 00000000A370: 85153C24
	s_mov_b64 exec, s[20:21]                                   // 00000000A374: BEFE0114
	global_atomic_add_f32 v6, v90, s[8:9] offset:8             // 00000000A378: DD348008 00085A06
	global_atomic_add_f32 v6, v94, s[8:9] offset:264           // 00000000A380: DD348108 00085E06
	s_mov_b64 exec, s[36:37]                                   // 00000000A388: BEFE0124
	v_mov_b32_e32 v6, v67                                      // 00000000A38C: 7E0C0343
	s_mov_b64 s[60:61], 0                                      // 00000000A390: BEBC0180
	v_readlane_b32 s82, v3, 2                                  // 00000000A394: D2890052 00010503
	s_and_b32 s82, s82, 0xffffff                               // 00000000A39C: 8652FF52 00FFFFFF
	s_cmp_lt_u32 s82, s66                                      // 00000000A3A4: BF0A4252
	s_cselect_b32 s20, s36, s60                                // 00000000A3A8: 85143C24
	v_readlane_b32 s82, v3, 3                                  // 00000000A3AC: D2890052 00010703
	s_and_b32 s82, s82, 0xffffff                               // 00000000A3B4: 8652FF52 00FFFFFF
	s_cmp_lt_u32 s82, s66                                      // 00000000A3BC: BF0A4252
	s_cselect_b32 s21, s36, s60                                // 00000000A3C0: 85153C24
	s_mov_b64 exec, s[20:21]                                   // 00000000A3C4: BEFE0114
	global_atomic_add_f32 v6, v91, s[8:9] offset:8             // 00000000A3C8: DD348008 00085B06
	global_atomic_add_f32 v6, v95, s[8:9] offset:264           // 00000000A3D0: DD348108 00085F06
	s_mov_b64 exec, s[36:37]                                   // 00000000A3D8: BEFE0124
	v_mov_b32_e32 v6, v68                                      // 00000000A3DC: 7E0C0344
	s_mov_b64 s[60:61], 0                                      // 00000000A3E0: BEBC0180
	v_readlane_b32 s82, v3, 4                                  // 00000000A3E4: D2890052 00010903
	s_and_b32 s82, s82, 0xffffff                               // 00000000A3EC: 8652FF52 00FFFFFF
	s_cmp_lt_u32 s82, s66                                      // 00000000A3F4: BF0A4252
	s_cselect_b32 s20, s36, s60                                // 00000000A3F8: 85143C24
	v_readlane_b32 s82, v3, 5                                  // 00000000A3FC: D2890052 00010B03
	s_and_b32 s82, s82, 0xffffff                               // 00000000A404: 8652FF52 00FFFFFF
	s_cmp_lt_u32 s82, s66                                      // 00000000A40C: BF0A4252
	s_cselect_b32 s21, s36, s60                                // 00000000A410: 85153C24
	s_mov_b64 exec, s[20:21]                                   // 00000000A414: BEFE0114
	global_atomic_add_f32 v6, v98, s[8:9] offset:8             // 00000000A418: DD348008 00086206
	global_atomic_add_f32 v6, v102, s[8:9] offset:264          // 00000000A420: DD348108 00086606
	s_mov_b64 exec, s[36:37]                                   // 00000000A428: BEFE0124
	v_mov_b32_e32 v6, v69                                      // 00000000A42C: 7E0C0345
	s_mov_b64 s[60:61], 0                                      // 00000000A430: BEBC0180
	v_readlane_b32 s82, v3, 6                                  // 00000000A434: D2890052 00010D03
	s_and_b32 s82, s82, 0xffffff                               // 00000000A43C: 8652FF52 00FFFFFF
	s_cmp_lt_u32 s82, s66                                      // 00000000A444: BF0A4252
	s_cselect_b32 s20, s36, s60                                // 00000000A448: 85143C24
	v_readlane_b32 s82, v3, 7                                  // 00000000A44C: D2890052 00010F03
	s_and_b32 s82, s82, 0xffffff                               // 00000000A454: 8652FF52 00FFFFFF
	s_cmp_lt_u32 s82, s66                                      // 00000000A45C: BF0A4252
	s_cselect_b32 s21, s36, s60                                // 00000000A460: 85153C24
	s_mov_b64 exec, s[20:21]                                   // 00000000A464: BEFE0114
	global_atomic_add_f32 v6, v99, s[8:9] offset:8             // 00000000A468: DD348008 00086306
	global_atomic_add_f32 v6, v103, s[8:9] offset:264          // 00000000A470: DD348108 00086706
	s_mov_b64 exec, s[36:37]                                   // 00000000A478: BEFE0124
	v_mov_b32_e32 v6, v70                                      // 00000000A47C: 7E0C0346
	s_mov_b64 s[60:61], 0                                      // 00000000A480: BEBC0180
	v_readlane_b32 s82, v3, 8                                  // 00000000A484: D2890052 00011103
	s_and_b32 s82, s82, 0xffffff                               // 00000000A48C: 8652FF52 00FFFFFF
	s_cmp_lt_u32 s82, s66                                      // 00000000A494: BF0A4252
	s_cselect_b32 s20, s36, s60                                // 00000000A498: 85143C24
	v_readlane_b32 s82, v3, 9                                  // 00000000A49C: D2890052 00011303
	s_and_b32 s82, s82, 0xffffff                               // 00000000A4A4: 8652FF52 00FFFFFF
	s_cmp_lt_u32 s82, s66                                      // 00000000A4AC: BF0A4252
	s_cselect_b32 s21, s36, s60                                // 00000000A4B0: 85153C24
	s_mov_b64 exec, s[20:21]                                   // 00000000A4B4: BEFE0114
	global_atomic_add_f32 v6, v106, s[8:9] offset:8            // 00000000A4B8: DD348008 00086A06
	global_atomic_add_f32 v6, v110, s[8:9] offset:264          // 00000000A4C0: DD348108 00086E06
	s_mov_b64 exec, s[36:37]                                   // 00000000A4C8: BEFE0124
	v_mov_b32_e32 v6, v71                                      // 00000000A4CC: 7E0C0347
	s_mov_b64 s[60:61], 0                                      // 00000000A4D0: BEBC0180
	v_readlane_b32 s82, v3, 10                                 // 00000000A4D4: D2890052 00011503
	s_and_b32 s82, s82, 0xffffff                               // 00000000A4DC: 8652FF52 00FFFFFF
	s_cmp_lt_u32 s82, s66                                      // 00000000A4E4: BF0A4252
	s_cselect_b32 s20, s36, s60                                // 00000000A4E8: 85143C24
	v_readlane_b32 s82, v3, 11                                 // 00000000A4EC: D2890052 00011703
	s_and_b32 s82, s82, 0xffffff                               // 00000000A4F4: 8652FF52 00FFFFFF
	s_cmp_lt_u32 s82, s66                                      // 00000000A4FC: BF0A4252
	s_cselect_b32 s21, s36, s60                                // 00000000A500: 85153C24
	s_mov_b64 exec, s[20:21]                                   // 00000000A504: BEFE0114
	global_atomic_add_f32 v6, v107, s[8:9] offset:8            // 00000000A508: DD348008 00086B06
	global_atomic_add_f32 v6, v111, s[8:9] offset:264          // 00000000A510: DD348108 00086F06
	s_mov_b64 exec, s[36:37]                                   // 00000000A518: BEFE0124
	v_mov_b32_e32 v6, v72                                      // 00000000A51C: 7E0C0348
	s_mov_b64 s[60:61], 0                                      // 00000000A520: BEBC0180
	v_readlane_b32 s82, v3, 12                                 // 00000000A524: D2890052 00011903
	s_and_b32 s82, s82, 0xffffff                               // 00000000A52C: 8652FF52 00FFFFFF
	s_cmp_lt_u32 s82, s66                                      // 00000000A534: BF0A4252
	s_cselect_b32 s20, s36, s60                                // 00000000A538: 85143C24
	v_readlane_b32 s82, v3, 13                                 // 00000000A53C: D2890052 00011B03
	s_and_b32 s82, s82, 0xffffff                               // 00000000A544: 8652FF52 00FFFFFF
	s_cmp_lt_u32 s82, s66                                      // 00000000A54C: BF0A4252
	s_cselect_b32 s21, s36, s60                                // 00000000A550: 85153C24
	s_mov_b64 exec, s[20:21]                                   // 00000000A554: BEFE0114
	global_atomic_add_f32 v6, v114, s[8:9] offset:8            // 00000000A558: DD348008 00087206
	global_atomic_add_f32 v6, v118, s[8:9] offset:264          // 00000000A560: DD348108 00087606
	s_mov_b64 exec, s[36:37]                                   // 00000000A568: BEFE0124
	v_mov_b32_e32 v6, v73                                      // 00000000A56C: 7E0C0349
	s_mov_b64 s[60:61], 0                                      // 00000000A570: BEBC0180
	v_readlane_b32 s82, v3, 14                                 // 00000000A574: D2890052 00011D03
	s_and_b32 s82, s82, 0xffffff                               // 00000000A57C: 8652FF52 00FFFFFF
	s_cmp_lt_u32 s82, s66                                      // 00000000A584: BF0A4252
	s_cselect_b32 s20, s36, s60                                // 00000000A588: 85143C24
	v_readlane_b32 s82, v3, 15                                 // 00000000A58C: D2890052 00011F03
	s_and_b32 s82, s82, 0xffffff                               // 00000000A594: 8652FF52 00FFFFFF
	s_cmp_lt_u32 s82, s66                                      // 00000000A59C: BF0A4252
	s_cselect_b32 s21, s36, s60                                // 00000000A5A0: 85153C24
	s_mov_b64 exec, s[20:21]                                   // 00000000A5A4: BEFE0114
	global_atomic_add_f32 v6, v115, s[8:9] offset:8            // 00000000A5A8: DD348008 00087306
	global_atomic_add_f32 v6, v119, s[8:9] offset:264          // 00000000A5B0: DD348108 00087706
	s_mov_b64 exec, s[36:37]                                   // 00000000A5B8: BEFE0124
	v_mov_b32_e32 v6, v74                                      // 00000000A5BC: 7E0C034A
	s_mov_b64 s[60:61], 0                                      // 00000000A5C0: BEBC0180
	v_readlane_b32 s82, v3, 16                                 // 00000000A5C4: D2890052 00012103
	s_and_b32 s82, s82, 0xffffff                               // 00000000A5CC: 8652FF52 00FFFFFF
	s_cmp_lt_u32 s82, s66                                      // 00000000A5D4: BF0A4252
	s_cselect_b32 s20, s36, s60                                // 00000000A5D8: 85143C24
	v_readlane_b32 s82, v3, 17                                 // 00000000A5DC: D2890052 00012303
	s_and_b32 s82, s82, 0xffffff                               // 00000000A5E4: 8652FF52 00FFFFFF
	s_cmp_lt_u32 s82, s66                                      // 00000000A5EC: BF0A4252
	s_cselect_b32 s21, s36, s60                                // 00000000A5F0: 85153C24
	s_mov_b64 exec, s[20:21]                                   // 00000000A5F4: BEFE0114
	global_atomic_add_f32 v6, v122, s[8:9] offset:8            // 00000000A5F8: DD348008 00087A06
	global_atomic_add_f32 v6, v126, s[8:9] offset:264          // 00000000A600: DD348108 00087E06
	s_mov_b64 exec, s[36:37]                                   // 00000000A608: BEFE0124
	v_mov_b32_e32 v6, v75                                      // 00000000A60C: 7E0C034B
	s_mov_b64 s[60:61], 0                                      // 00000000A610: BEBC0180
	v_readlane_b32 s82, v3, 18                                 // 00000000A614: D2890052 00012503
	s_and_b32 s82, s82, 0xffffff                               // 00000000A61C: 8652FF52 00FFFFFF
	s_cmp_lt_u32 s82, s66                                      // 00000000A624: BF0A4252
	s_cselect_b32 s20, s36, s60                                // 00000000A628: 85143C24
	v_readlane_b32 s82, v3, 19                                 // 00000000A62C: D2890052 00012703
	s_and_b32 s82, s82, 0xffffff                               // 00000000A634: 8652FF52 00FFFFFF
	s_cmp_lt_u32 s82, s66                                      // 00000000A63C: BF0A4252
	s_cselect_b32 s21, s36, s60                                // 00000000A640: 85153C24
	s_mov_b64 exec, s[20:21]                                   // 00000000A644: BEFE0114
	global_atomic_add_f32 v6, v123, s[8:9] offset:8            // 00000000A648: DD348008 00087B06
	global_atomic_add_f32 v6, v127, s[8:9] offset:264          // 00000000A650: DD348108 00087F06
	s_mov_b64 exec, s[36:37]                                   // 00000000A658: BEFE0124
	v_mov_b32_e32 v6, v76                                      // 00000000A65C: 7E0C034C
	s_mov_b64 s[60:61], 0                                      // 00000000A660: BEBC0180
	v_readlane_b32 s82, v3, 20                                 // 00000000A664: D2890052 00012903
	s_and_b32 s82, s82, 0xffffff                               // 00000000A66C: 8652FF52 00FFFFFF
	s_cmp_lt_u32 s82, s66                                      // 00000000A674: BF0A4252
	s_cselect_b32 s20, s36, s60                                // 00000000A678: 85143C24
	v_readlane_b32 s82, v3, 21                                 // 00000000A67C: D2890052 00012B03
	s_and_b32 s82, s82, 0xffffff                               // 00000000A684: 8652FF52 00FFFFFF
	s_cmp_lt_u32 s82, s66                                      // 00000000A68C: BF0A4252
	s_cselect_b32 s21, s36, s60                                // 00000000A690: 85153C24
	s_mov_b64 exec, s[20:21]                                   // 00000000A694: BEFE0114
	global_atomic_add_f32 v6, v130, s[8:9] offset:8            // 00000000A698: DD348008 00088206
	global_atomic_add_f32 v6, v134, s[8:9] offset:264          // 00000000A6A0: DD348108 00088606
	s_mov_b64 exec, s[36:37]                                   // 00000000A6A8: BEFE0124
	v_mov_b32_e32 v6, v77                                      // 00000000A6AC: 7E0C034D
	s_mov_b64 s[60:61], 0                                      // 00000000A6B0: BEBC0180
	v_readlane_b32 s82, v3, 22                                 // 00000000A6B4: D2890052 00012D03
	s_and_b32 s82, s82, 0xffffff                               // 00000000A6BC: 8652FF52 00FFFFFF
	s_cmp_lt_u32 s82, s66                                      // 00000000A6C4: BF0A4252
	s_cselect_b32 s20, s36, s60                                // 00000000A6C8: 85143C24
	v_readlane_b32 s82, v3, 23                                 // 00000000A6CC: D2890052 00012F03
	s_and_b32 s82, s82, 0xffffff                               // 00000000A6D4: 8652FF52 00FFFFFF
	s_cmp_lt_u32 s82, s66                                      // 00000000A6DC: BF0A4252
	s_cselect_b32 s21, s36, s60                                // 00000000A6E0: 85153C24
	s_mov_b64 exec, s[20:21]                                   // 00000000A6E4: BEFE0114
	global_atomic_add_f32 v6, v131, s[8:9] offset:8            // 00000000A6E8: DD348008 00088306
	global_atomic_add_f32 v6, v135, s[8:9] offset:264          // 00000000A6F0: DD348108 00088706
	s_mov_b64 exec, s[36:37]                                   // 00000000A6F8: BEFE0124
	v_mov_b32_e32 v6, v78                                      // 00000000A6FC: 7E0C034E
	s_mov_b64 s[60:61], 0                                      // 00000000A700: BEBC0180
	v_readlane_b32 s82, v3, 24                                 // 00000000A704: D2890052 00013103
	s_and_b32 s82, s82, 0xffffff                               // 00000000A70C: 8652FF52 00FFFFFF
	s_cmp_lt_u32 s82, s66                                      // 00000000A714: BF0A4252
	s_cselect_b32 s20, s36, s60                                // 00000000A718: 85143C24
	v_readlane_b32 s82, v3, 25                                 // 00000000A71C: D2890052 00013303
	s_and_b32 s82, s82, 0xffffff                               // 00000000A724: 8652FF52 00FFFFFF
	s_cmp_lt_u32 s82, s66                                      // 00000000A72C: BF0A4252
	s_cselect_b32 s21, s36, s60                                // 00000000A730: 85153C24
	s_mov_b64 exec, s[20:21]                                   // 00000000A734: BEFE0114
	global_atomic_add_f32 v6, v138, s[8:9] offset:8            // 00000000A738: DD348008 00088A06
	global_atomic_add_f32 v6, v142, s[8:9] offset:264          // 00000000A740: DD348108 00088E06
	s_mov_b64 exec, s[36:37]                                   // 00000000A748: BEFE0124
	v_mov_b32_e32 v6, v79                                      // 00000000A74C: 7E0C034F
	s_mov_b64 s[60:61], 0                                      // 00000000A750: BEBC0180
	v_readlane_b32 s82, v3, 26                                 // 00000000A754: D2890052 00013503
	s_and_b32 s82, s82, 0xffffff                               // 00000000A75C: 8652FF52 00FFFFFF
	s_cmp_lt_u32 s82, s66                                      // 00000000A764: BF0A4252
	s_cselect_b32 s20, s36, s60                                // 00000000A768: 85143C24
	v_readlane_b32 s82, v3, 27                                 // 00000000A76C: D2890052 00013703
	s_and_b32 s82, s82, 0xffffff                               // 00000000A774: 8652FF52 00FFFFFF
	s_cmp_lt_u32 s82, s66                                      // 00000000A77C: BF0A4252
	s_cselect_b32 s21, s36, s60                                // 00000000A780: 85153C24
	s_mov_b64 exec, s[20:21]                                   // 00000000A784: BEFE0114
	global_atomic_add_f32 v6, v139, s[8:9] offset:8            // 00000000A788: DD348008 00088B06
	global_atomic_add_f32 v6, v143, s[8:9] offset:264          // 00000000A790: DD348108 00088F06
	s_mov_b64 exec, s[36:37]                                   // 00000000A798: BEFE0124
	v_mov_b32_e32 v6, v80                                      // 00000000A79C: 7E0C0350
	s_mov_b64 s[60:61], 0                                      // 00000000A7A0: BEBC0180
	v_readlane_b32 s82, v3, 28                                 // 00000000A7A4: D2890052 00013903
	s_and_b32 s82, s82, 0xffffff                               // 00000000A7AC: 8652FF52 00FFFFFF
	s_cmp_lt_u32 s82, s66                                      // 00000000A7B4: BF0A4252
	s_cselect_b32 s20, s36, s60                                // 00000000A7B8: 85143C24
	v_readlane_b32 s82, v3, 29                                 // 00000000A7BC: D2890052 00013B03
	s_and_b32 s82, s82, 0xffffff                               // 00000000A7C4: 8652FF52 00FFFFFF
	s_cmp_lt_u32 s82, s66                                      // 00000000A7CC: BF0A4252
	s_cselect_b32 s21, s36, s60                                // 00000000A7D0: 85153C24
	s_mov_b64 exec, s[20:21]                                   // 00000000A7D4: BEFE0114
	global_atomic_add_f32 v6, v146, s[8:9] offset:8            // 00000000A7D8: DD348008 00089206
	global_atomic_add_f32 v6, v150, s[8:9] offset:264          // 00000000A7E0: DD348108 00089606
	s_mov_b64 exec, s[36:37]                                   // 00000000A7E8: BEFE0124
	v_mov_b32_e32 v6, v81                                      // 00000000A7EC: 7E0C0351
	s_mov_b64 s[60:61], 0                                      // 00000000A7F0: BEBC0180
	v_readlane_b32 s82, v3, 30                                 // 00000000A7F4: D2890052 00013D03
	s_and_b32 s82, s82, 0xffffff                               // 00000000A7FC: 8652FF52 00FFFFFF
	s_cmp_lt_u32 s82, s66                                      // 00000000A804: BF0A4252
	s_cselect_b32 s20, s36, s60                                // 00000000A808: 85143C24
	v_readlane_b32 s82, v3, 31                                 // 00000000A80C: D2890052 00013F03
	s_and_b32 s82, s82, 0xffffff                               // 00000000A814: 8652FF52 00FFFFFF
	s_cmp_lt_u32 s82, s66                                      // 00000000A81C: BF0A4252
	s_cselect_b32 s21, s36, s60                                // 00000000A820: 85153C24
	s_mov_b64 exec, s[20:21]                                   // 00000000A824: BEFE0114
	global_atomic_add_f32 v6, v147, s[8:9] offset:8            // 00000000A828: DD348008 00089306
	global_atomic_add_f32 v6, v151, s[8:9] offset:264          // 00000000A830: DD348108 00089706
	s_mov_b64 exec, s[36:37]                                   // 00000000A838: BEFE0124
	v_mov_b32_e32 v6, v82                                      // 00000000A83C: 7E0C0352
	s_mov_b64 s[60:61], 0                                      // 00000000A840: BEBC0180
	v_readlane_b32 s82, v3, 32                                 // 00000000A844: D2890052 00014103
	s_and_b32 s82, s82, 0xffffff                               // 00000000A84C: 8652FF52 00FFFFFF
	s_cmp_lt_u32 s82, s66                                      // 00000000A854: BF0A4252
	s_cselect_b32 s20, s36, s60                                // 00000000A858: 85143C24
	v_readlane_b32 s82, v3, 33                                 // 00000000A85C: D2890052 00014303
	s_and_b32 s82, s82, 0xffffff                               // 00000000A864: 8652FF52 00FFFFFF
	s_cmp_lt_u32 s82, s66                                      // 00000000A86C: BF0A4252
	s_cselect_b32 s21, s36, s60                                // 00000000A870: 85153C24
	s_mov_b64 exec, s[20:21]                                   // 00000000A874: BEFE0114
	global_atomic_add_f32 v6, v154, s[8:9] offset:8            // 00000000A878: DD348008 00089A06
	global_atomic_add_f32 v6, v158, s[8:9] offset:264          // 00000000A880: DD348108 00089E06
	s_mov_b64 exec, s[36:37]                                   // 00000000A888: BEFE0124
	v_mov_b32_e32 v6, v83                                      // 00000000A88C: 7E0C0353
	s_mov_b64 s[60:61], 0                                      // 00000000A890: BEBC0180
	v_readlane_b32 s82, v3, 34                                 // 00000000A894: D2890052 00014503
	s_and_b32 s82, s82, 0xffffff                               // 00000000A89C: 8652FF52 00FFFFFF
	s_cmp_lt_u32 s82, s66                                      // 00000000A8A4: BF0A4252
	s_cselect_b32 s20, s36, s60                                // 00000000A8A8: 85143C24
	v_readlane_b32 s82, v3, 35                                 // 00000000A8AC: D2890052 00014703
	s_and_b32 s82, s82, 0xffffff                               // 00000000A8B4: 8652FF52 00FFFFFF
	s_cmp_lt_u32 s82, s66                                      // 00000000A8BC: BF0A4252
	s_cselect_b32 s21, s36, s60                                // 00000000A8C0: 85153C24
	s_mov_b64 exec, s[20:21]                                   // 00000000A8C4: BEFE0114
	global_atomic_add_f32 v6, v155, s[8:9] offset:8            // 00000000A8C8: DD348008 00089B06
	global_atomic_add_f32 v6, v159, s[8:9] offset:264          // 00000000A8D0: DD348108 00089F06
	s_mov_b64 exec, s[36:37]                                   // 00000000A8D8: BEFE0124
	ds_write_b64 v20, v[160:161]                               // 00000000A8DC: D89A0000 0000A014
	ds_write_b64 v20, v[164:165] offset:4352                   // 00000000A8E4: D89A1100 0000A414
	ds_write_b64 v20, v[168:169] offset:8704                   // 00000000A8EC: D89A2200 0000A814
	ds_write_b64 v20, v[172:173] offset:13056                  // 00000000A8F4: D89A3300 0000AC14
	ds_write_b64 v20, v[176:177] offset:17408                  // 00000000A8FC: D89A4400 0000B014
	ds_write_b64 v20, v[180:181] offset:21760                  // 00000000A904: D89A5500 0000B414
	ds_write_b64 v20, v[184:185] offset:26112                  // 00000000A90C: D89A6600 0000B814
	ds_write_b64 v20, v[188:189] offset:30464                  // 00000000A914: D89A7700 0000BC14
	ds_write_b64 v20, v[192:193] offset:34816                  // 00000000A91C: D89A8800 0000C014
	ds_write_b64 v20, v[196:197] offset:2176                   // 00000000A924: D89A0880 0000C414
	ds_write_b64 v20, v[200:201] offset:6528                   // 00000000A92C: D89A1980 0000C814
	ds_write_b64 v20, v[204:205] offset:10880                  // 00000000A934: D89A2A80 0000CC14
	ds_write_b64 v20, v[208:209] offset:15232                  // 00000000A93C: D89A3B80 0000D014
	ds_write_b64 v20, v[212:213] offset:19584                  // 00000000A944: D89A4C80 0000D414
	ds_write_b64 v20, v[216:217] offset:23936                  // 00000000A94C: D89A5D80 0000D814
	ds_write_b64 v20, v[220:221] offset:28288                  // 00000000A954: D89A6E80 0000DC14
	ds_write_b64 v20, v[224:225] offset:32640                  // 00000000A95C: D89A7F80 0000E014
	ds_write_b64 v20, v[228:229] offset:36992                  // 00000000A964: D89A9080 0000E414
	s_waitcnt lgkmcnt(0)                                       // 00000000A96C: BF8CC07F
	s_barrier                                                  // 00000000A970: BF8A0000
	ds_read_b32 v160, v21                                      // 00000000A974: D86C0000 A0000015
	ds_read_b32 v161, v21 offset:64                            // 00000000A97C: D86C0040 A1000015
	ds_read_b32 v164, v21 offset:2176                          // 00000000A984: D86C0880 A4000015
	ds_read_b32 v165, v21 offset:2240                          // 00000000A98C: D86C08C0 A5000015
	ds_read_b32 v168, v21 offset:4352                          // 00000000A994: D86C1100 A8000015
	ds_read_b32 v169, v21 offset:4416                          // 00000000A99C: D86C1140 A9000015
	ds_read_b32 v172, v21 offset:6528                          // 00000000A9A4: D86C1980 AC000015
	ds_read_b32 v173, v21 offset:6592                          // 00000000A9AC: D86C19C0 AD000015
	ds_read_b32 v176, v21 offset:8704                          // 00000000A9B4: D86C2200 B0000015
	ds_read_b32 v177, v21 offset:8768                          // 00000000A9BC: D86C2240 B1000015
	ds_read_b32 v180, v21 offset:10880                         // 00000000A9C4: D86C2A80 B4000015
	ds_read_b32 v181, v21 offset:10944                         // 00000000A9CC: D86C2AC0 B5000015
	ds_read_b32 v184, v21 offset:13056                         // 00000000A9D4: D86C3300 B8000015
	ds_read_b32 v185, v21 offset:13120                         // 00000000A9DC: D86C3340 B9000015
	ds_read_b32 v188, v21 offset:15232                         // 00000000A9E4: D86C3B80 BC000015
	ds_read_b32 v189, v21 offset:15296                         // 00000000A9EC: D86C3BC0 BD000015
	ds_read_b32 v192, v21 offset:17408                         // 00000000A9F4: D86C4400 C0000015
	ds_read_b32 v193, v21 offset:17472                         // 00000000A9FC: D86C4440 C1000015
	ds_read_b32 v196, v21 offset:19584                         // 00000000AA04: D86C4C80 C4000015
	ds_read_b32 v197, v21 offset:19648                         // 00000000AA0C: D86C4CC0 C5000015
	ds_read_b32 v200, v21 offset:21760                         // 00000000AA14: D86C5500 C8000015
	ds_read_b32 v201, v21 offset:21824                         // 00000000AA1C: D86C5540 C9000015
	ds_read_b32 v204, v21 offset:23936                         // 00000000AA24: D86C5D80 CC000015
	ds_read_b32 v205, v21 offset:24000                         // 00000000AA2C: D86C5DC0 CD000015
	ds_read_b32 v208, v21 offset:26112                         // 00000000AA34: D86C6600 D0000015
	ds_read_b32 v209, v21 offset:26176                         // 00000000AA3C: D86C6640 D1000015
	ds_read_b32 v212, v21 offset:28288                         // 00000000AA44: D86C6E80 D4000015
	ds_read_b32 v213, v21 offset:28352                         // 00000000AA4C: D86C6EC0 D5000015
	ds_read_b32 v216, v21 offset:30464                         // 00000000AA54: D86C7700 D8000015
	ds_read_b32 v217, v21 offset:30528                         // 00000000AA5C: D86C7740 D9000015
	ds_read_b32 v220, v21 offset:32640                         // 00000000AA64: D86C7F80 DC000015
	ds_read_b32 v221, v21 offset:32704                         // 00000000AA6C: D86C7FC0 DD000015
	ds_read_b32 v224, v21 offset:34816                         // 00000000AA74: D86C8800 E0000015
	ds_read_b32 v225, v21 offset:34880                         // 00000000AA7C: D86C8840 E1000015
	ds_read_b32 v228, v21 offset:36992                         // 00000000AA84: D86C9080 E4000015
	ds_read_b32 v229, v21 offset:37056                         // 00000000AA8C: D86C90C0 E5000015
	s_mul_i32 s60, s65, 4                                      // 00000000AA94: 923C8441
	s_add_u32 s8, s60, s8                                      // 00000000AA98: 8008083C
	s_addc_u32 s9, 0, s9                                       // 00000000AA9C: 82090980
	s_waitcnt lgkmcnt(0)                                       // 00000000AAA0: BF8CC07F
	v_mov_b32_e32 v7, 0                                        // 00000000AAA4: 7E0E0280
	s_mov_b64 exec, s[36:37]                                   // 00000000AAA8: BEFE0124
	v_mov_b32_e32 v6, v66                                      // 00000000AAAC: 7E0C0342
	s_mov_b64 s[60:61], 0                                      // 00000000AAB0: BEBC0180
	v_readlane_b32 s82, v3, 0                                  // 00000000AAB4: D2890052 00010103
	s_and_b32 s82, s82, 0xffffff                               // 00000000AABC: 8652FF52 00FFFFFF
	s_cmp_lt_u32 s82, s66                                      // 00000000AAC4: BF0A4252
	s_cselect_b32 s20, s36, s60                                // 00000000AAC8: 85143C24
	v_readlane_b32 s82, v3, 1                                  // 00000000AACC: D2890052 00010303
	s_and_b32 s82, s82, 0xffffff                               // 00000000AAD4: 8652FF52 00FFFFFF
	s_cmp_lt_u32 s82, s66                                      // 00000000AADC: BF0A4252
	s_cselect_b32 s21, s36, s60                                // 00000000AAE0: 85153C24
	s_mov_b64 exec, s[20:21]                                   // 00000000AAE4: BEFE0114
	global_atomic_add_f32 v6, v160, s[8:9]                     // 00000000AAE8: DD348000 0008A006
	global_atomic_add_f32 v6, v164, s[8:9] offset:256          // 00000000AAF0: DD348100 0008A406
	s_mov_b64 exec, s[36:37]                                   // 00000000AAF8: BEFE0124
	v_mov_b32_e32 v6, v67                                      // 00000000AAFC: 7E0C0343
	s_mov_b64 s[60:61], 0                                      // 00000000AB00: BEBC0180
	v_readlane_b32 s82, v3, 2                                  // 00000000AB04: D2890052 00010503
	s_and_b32 s82, s82, 0xffffff                               // 00000000AB0C: 8652FF52 00FFFFFF
	s_cmp_lt_u32 s82, s66                                      // 00000000AB14: BF0A4252
	s_cselect_b32 s20, s36, s60                                // 00000000AB18: 85143C24
	v_readlane_b32 s82, v3, 3                                  // 00000000AB1C: D2890052 00010703
	s_and_b32 s82, s82, 0xffffff                               // 00000000AB24: 8652FF52 00FFFFFF
	s_cmp_lt_u32 s82, s66                                      // 00000000AB2C: BF0A4252
	s_cselect_b32 s21, s36, s60                                // 00000000AB30: 85153C24
	s_mov_b64 exec, s[20:21]                                   // 00000000AB34: BEFE0114
	global_atomic_add_f32 v6, v161, s[8:9]                     // 00000000AB38: DD348000 0008A106
	global_atomic_add_f32 v6, v165, s[8:9] offset:256          // 00000000AB40: DD348100 0008A506
	s_mov_b64 exec, s[36:37]                                   // 00000000AB48: BEFE0124
	v_mov_b32_e32 v6, v68                                      // 00000000AB4C: 7E0C0344
	s_mov_b64 s[60:61], 0                                      // 00000000AB50: BEBC0180
	v_readlane_b32 s82, v3, 4                                  // 00000000AB54: D2890052 00010903
	s_and_b32 s82, s82, 0xffffff                               // 00000000AB5C: 8652FF52 00FFFFFF
	s_cmp_lt_u32 s82, s66                                      // 00000000AB64: BF0A4252
	s_cselect_b32 s20, s36, s60                                // 00000000AB68: 85143C24
	v_readlane_b32 s82, v3, 5                                  // 00000000AB6C: D2890052 00010B03
	s_and_b32 s82, s82, 0xffffff                               // 00000000AB74: 8652FF52 00FFFFFF
	s_cmp_lt_u32 s82, s66                                      // 00000000AB7C: BF0A4252
	s_cselect_b32 s21, s36, s60                                // 00000000AB80: 85153C24
	s_mov_b64 exec, s[20:21]                                   // 00000000AB84: BEFE0114
	global_atomic_add_f32 v6, v168, s[8:9]                     // 00000000AB88: DD348000 0008A806
	global_atomic_add_f32 v6, v172, s[8:9] offset:256          // 00000000AB90: DD348100 0008AC06
	s_mov_b64 exec, s[36:37]                                   // 00000000AB98: BEFE0124
	v_mov_b32_e32 v6, v69                                      // 00000000AB9C: 7E0C0345
	s_mov_b64 s[60:61], 0                                      // 00000000ABA0: BEBC0180
	v_readlane_b32 s82, v3, 6                                  // 00000000ABA4: D2890052 00010D03
	s_and_b32 s82, s82, 0xffffff                               // 00000000ABAC: 8652FF52 00FFFFFF
	s_cmp_lt_u32 s82, s66                                      // 00000000ABB4: BF0A4252
	s_cselect_b32 s20, s36, s60                                // 00000000ABB8: 85143C24
	v_readlane_b32 s82, v3, 7                                  // 00000000ABBC: D2890052 00010F03
	s_and_b32 s82, s82, 0xffffff                               // 00000000ABC4: 8652FF52 00FFFFFF
	s_cmp_lt_u32 s82, s66                                      // 00000000ABCC: BF0A4252
	s_cselect_b32 s21, s36, s60                                // 00000000ABD0: 85153C24
	s_mov_b64 exec, s[20:21]                                   // 00000000ABD4: BEFE0114
	global_atomic_add_f32 v6, v169, s[8:9]                     // 00000000ABD8: DD348000 0008A906
	global_atomic_add_f32 v6, v173, s[8:9] offset:256          // 00000000ABE0: DD348100 0008AD06
	s_mov_b64 exec, s[36:37]                                   // 00000000ABE8: BEFE0124
	v_mov_b32_e32 v6, v70                                      // 00000000ABEC: 7E0C0346
	s_mov_b64 s[60:61], 0                                      // 00000000ABF0: BEBC0180
	v_readlane_b32 s82, v3, 8                                  // 00000000ABF4: D2890052 00011103
	s_and_b32 s82, s82, 0xffffff                               // 00000000ABFC: 8652FF52 00FFFFFF
	s_cmp_lt_u32 s82, s66                                      // 00000000AC04: BF0A4252
	s_cselect_b32 s20, s36, s60                                // 00000000AC08: 85143C24
	v_readlane_b32 s82, v3, 9                                  // 00000000AC0C: D2890052 00011303
	s_and_b32 s82, s82, 0xffffff                               // 00000000AC14: 8652FF52 00FFFFFF
	s_cmp_lt_u32 s82, s66                                      // 00000000AC1C: BF0A4252
	s_cselect_b32 s21, s36, s60                                // 00000000AC20: 85153C24
	s_mov_b64 exec, s[20:21]                                   // 00000000AC24: BEFE0114
	global_atomic_add_f32 v6, v176, s[8:9]                     // 00000000AC28: DD348000 0008B006
	global_atomic_add_f32 v6, v180, s[8:9] offset:256          // 00000000AC30: DD348100 0008B406
	s_mov_b64 exec, s[36:37]                                   // 00000000AC38: BEFE0124
	v_mov_b32_e32 v6, v71                                      // 00000000AC3C: 7E0C0347
	s_mov_b64 s[60:61], 0                                      // 00000000AC40: BEBC0180
	v_readlane_b32 s82, v3, 10                                 // 00000000AC44: D2890052 00011503
	s_and_b32 s82, s82, 0xffffff                               // 00000000AC4C: 8652FF52 00FFFFFF
	s_cmp_lt_u32 s82, s66                                      // 00000000AC54: BF0A4252
	s_cselect_b32 s20, s36, s60                                // 00000000AC58: 85143C24
	v_readlane_b32 s82, v3, 11                                 // 00000000AC5C: D2890052 00011703
	s_and_b32 s82, s82, 0xffffff                               // 00000000AC64: 8652FF52 00FFFFFF
	s_cmp_lt_u32 s82, s66                                      // 00000000AC6C: BF0A4252
	s_cselect_b32 s21, s36, s60                                // 00000000AC70: 85153C24
	s_mov_b64 exec, s[20:21]                                   // 00000000AC74: BEFE0114
	global_atomic_add_f32 v6, v177, s[8:9]                     // 00000000AC78: DD348000 0008B106
	global_atomic_add_f32 v6, v181, s[8:9] offset:256          // 00000000AC80: DD348100 0008B506
	s_mov_b64 exec, s[36:37]                                   // 00000000AC88: BEFE0124
	v_mov_b32_e32 v6, v72                                      // 00000000AC8C: 7E0C0348
	s_mov_b64 s[60:61], 0                                      // 00000000AC90: BEBC0180
	v_readlane_b32 s82, v3, 12                                 // 00000000AC94: D2890052 00011903
	s_and_b32 s82, s82, 0xffffff                               // 00000000AC9C: 8652FF52 00FFFFFF
	s_cmp_lt_u32 s82, s66                                      // 00000000ACA4: BF0A4252
	s_cselect_b32 s20, s36, s60                                // 00000000ACA8: 85143C24
	v_readlane_b32 s82, v3, 13                                 // 00000000ACAC: D2890052 00011B03
	s_and_b32 s82, s82, 0xffffff                               // 00000000ACB4: 8652FF52 00FFFFFF
	s_cmp_lt_u32 s82, s66                                      // 00000000ACBC: BF0A4252
	s_cselect_b32 s21, s36, s60                                // 00000000ACC0: 85153C24
	s_mov_b64 exec, s[20:21]                                   // 00000000ACC4: BEFE0114
	global_atomic_add_f32 v6, v184, s[8:9]                     // 00000000ACC8: DD348000 0008B806
	global_atomic_add_f32 v6, v188, s[8:9] offset:256          // 00000000ACD0: DD348100 0008BC06
	s_mov_b64 exec, s[36:37]                                   // 00000000ACD8: BEFE0124
	v_mov_b32_e32 v6, v73                                      // 00000000ACDC: 7E0C0349
	s_mov_b64 s[60:61], 0                                      // 00000000ACE0: BEBC0180
	v_readlane_b32 s82, v3, 14                                 // 00000000ACE4: D2890052 00011D03
	s_and_b32 s82, s82, 0xffffff                               // 00000000ACEC: 8652FF52 00FFFFFF
	s_cmp_lt_u32 s82, s66                                      // 00000000ACF4: BF0A4252
	s_cselect_b32 s20, s36, s60                                // 00000000ACF8: 85143C24
	v_readlane_b32 s82, v3, 15                                 // 00000000ACFC: D2890052 00011F03
	s_and_b32 s82, s82, 0xffffff                               // 00000000AD04: 8652FF52 00FFFFFF
	s_cmp_lt_u32 s82, s66                                      // 00000000AD0C: BF0A4252
	s_cselect_b32 s21, s36, s60                                // 00000000AD10: 85153C24
	s_mov_b64 exec, s[20:21]                                   // 00000000AD14: BEFE0114
	global_atomic_add_f32 v6, v185, s[8:9]                     // 00000000AD18: DD348000 0008B906
	global_atomic_add_f32 v6, v189, s[8:9] offset:256          // 00000000AD20: DD348100 0008BD06
	s_mov_b64 exec, s[36:37]                                   // 00000000AD28: BEFE0124
	v_mov_b32_e32 v6, v74                                      // 00000000AD2C: 7E0C034A
	s_mov_b64 s[60:61], 0                                      // 00000000AD30: BEBC0180
	v_readlane_b32 s82, v3, 16                                 // 00000000AD34: D2890052 00012103
	s_and_b32 s82, s82, 0xffffff                               // 00000000AD3C: 8652FF52 00FFFFFF
	s_cmp_lt_u32 s82, s66                                      // 00000000AD44: BF0A4252
	s_cselect_b32 s20, s36, s60                                // 00000000AD48: 85143C24
	v_readlane_b32 s82, v3, 17                                 // 00000000AD4C: D2890052 00012303
	s_and_b32 s82, s82, 0xffffff                               // 00000000AD54: 8652FF52 00FFFFFF
	s_cmp_lt_u32 s82, s66                                      // 00000000AD5C: BF0A4252
	s_cselect_b32 s21, s36, s60                                // 00000000AD60: 85153C24
	s_mov_b64 exec, s[20:21]                                   // 00000000AD64: BEFE0114
	global_atomic_add_f32 v6, v192, s[8:9]                     // 00000000AD68: DD348000 0008C006
	global_atomic_add_f32 v6, v196, s[8:9] offset:256          // 00000000AD70: DD348100 0008C406
	s_mov_b64 exec, s[36:37]                                   // 00000000AD78: BEFE0124
	v_mov_b32_e32 v6, v75                                      // 00000000AD7C: 7E0C034B
	s_mov_b64 s[60:61], 0                                      // 00000000AD80: BEBC0180
	v_readlane_b32 s82, v3, 18                                 // 00000000AD84: D2890052 00012503
	s_and_b32 s82, s82, 0xffffff                               // 00000000AD8C: 8652FF52 00FFFFFF
	s_cmp_lt_u32 s82, s66                                      // 00000000AD94: BF0A4252
	s_cselect_b32 s20, s36, s60                                // 00000000AD98: 85143C24
	v_readlane_b32 s82, v3, 19                                 // 00000000AD9C: D2890052 00012703
	s_and_b32 s82, s82, 0xffffff                               // 00000000ADA4: 8652FF52 00FFFFFF
	s_cmp_lt_u32 s82, s66                                      // 00000000ADAC: BF0A4252
	s_cselect_b32 s21, s36, s60                                // 00000000ADB0: 85153C24
	s_mov_b64 exec, s[20:21]                                   // 00000000ADB4: BEFE0114
	global_atomic_add_f32 v6, v193, s[8:9]                     // 00000000ADB8: DD348000 0008C106
	global_atomic_add_f32 v6, v197, s[8:9] offset:256          // 00000000ADC0: DD348100 0008C506
	s_mov_b64 exec, s[36:37]                                   // 00000000ADC8: BEFE0124
	v_mov_b32_e32 v6, v76                                      // 00000000ADCC: 7E0C034C
	s_mov_b64 s[60:61], 0                                      // 00000000ADD0: BEBC0180
	v_readlane_b32 s82, v3, 20                                 // 00000000ADD4: D2890052 00012903
	s_and_b32 s82, s82, 0xffffff                               // 00000000ADDC: 8652FF52 00FFFFFF
	s_cmp_lt_u32 s82, s66                                      // 00000000ADE4: BF0A4252
	s_cselect_b32 s20, s36, s60                                // 00000000ADE8: 85143C24
	v_readlane_b32 s82, v3, 21                                 // 00000000ADEC: D2890052 00012B03
	s_and_b32 s82, s82, 0xffffff                               // 00000000ADF4: 8652FF52 00FFFFFF
	s_cmp_lt_u32 s82, s66                                      // 00000000ADFC: BF0A4252
	s_cselect_b32 s21, s36, s60                                // 00000000AE00: 85153C24
	s_mov_b64 exec, s[20:21]                                   // 00000000AE04: BEFE0114
	global_atomic_add_f32 v6, v200, s[8:9]                     // 00000000AE08: DD348000 0008C806
	global_atomic_add_f32 v6, v204, s[8:9] offset:256          // 00000000AE10: DD348100 0008CC06
	s_mov_b64 exec, s[36:37]                                   // 00000000AE18: BEFE0124
	v_mov_b32_e32 v6, v77                                      // 00000000AE1C: 7E0C034D
	s_mov_b64 s[60:61], 0                                      // 00000000AE20: BEBC0180
	v_readlane_b32 s82, v3, 22                                 // 00000000AE24: D2890052 00012D03
	s_and_b32 s82, s82, 0xffffff                               // 00000000AE2C: 8652FF52 00FFFFFF
	s_cmp_lt_u32 s82, s66                                      // 00000000AE34: BF0A4252
	s_cselect_b32 s20, s36, s60                                // 00000000AE38: 85143C24
	v_readlane_b32 s82, v3, 23                                 // 00000000AE3C: D2890052 00012F03
	s_and_b32 s82, s82, 0xffffff                               // 00000000AE44: 8652FF52 00FFFFFF
	s_cmp_lt_u32 s82, s66                                      // 00000000AE4C: BF0A4252
	s_cselect_b32 s21, s36, s60                                // 00000000AE50: 85153C24
	s_mov_b64 exec, s[20:21]                                   // 00000000AE54: BEFE0114
	global_atomic_add_f32 v6, v201, s[8:9]                     // 00000000AE58: DD348000 0008C906
	global_atomic_add_f32 v6, v205, s[8:9] offset:256          // 00000000AE60: DD348100 0008CD06
	s_mov_b64 exec, s[36:37]                                   // 00000000AE68: BEFE0124
	v_mov_b32_e32 v6, v78                                      // 00000000AE6C: 7E0C034E
	s_mov_b64 s[60:61], 0                                      // 00000000AE70: BEBC0180
	v_readlane_b32 s82, v3, 24                                 // 00000000AE74: D2890052 00013103
	s_and_b32 s82, s82, 0xffffff                               // 00000000AE7C: 8652FF52 00FFFFFF
	s_cmp_lt_u32 s82, s66                                      // 00000000AE84: BF0A4252
	s_cselect_b32 s20, s36, s60                                // 00000000AE88: 85143C24
	v_readlane_b32 s82, v3, 25                                 // 00000000AE8C: D2890052 00013303
	s_and_b32 s82, s82, 0xffffff                               // 00000000AE94: 8652FF52 00FFFFFF
	s_cmp_lt_u32 s82, s66                                      // 00000000AE9C: BF0A4252
	s_cselect_b32 s21, s36, s60                                // 00000000AEA0: 85153C24
	s_mov_b64 exec, s[20:21]                                   // 00000000AEA4: BEFE0114
	global_atomic_add_f32 v6, v208, s[8:9]                     // 00000000AEA8: DD348000 0008D006
	global_atomic_add_f32 v6, v212, s[8:9] offset:256          // 00000000AEB0: DD348100 0008D406
	s_mov_b64 exec, s[36:37]                                   // 00000000AEB8: BEFE0124
	v_mov_b32_e32 v6, v79                                      // 00000000AEBC: 7E0C034F
	s_mov_b64 s[60:61], 0                                      // 00000000AEC0: BEBC0180
	v_readlane_b32 s82, v3, 26                                 // 00000000AEC4: D2890052 00013503
	s_and_b32 s82, s82, 0xffffff                               // 00000000AECC: 8652FF52 00FFFFFF
	s_cmp_lt_u32 s82, s66                                      // 00000000AED4: BF0A4252
	s_cselect_b32 s20, s36, s60                                // 00000000AED8: 85143C24
	v_readlane_b32 s82, v3, 27                                 // 00000000AEDC: D2890052 00013703
	s_and_b32 s82, s82, 0xffffff                               // 00000000AEE4: 8652FF52 00FFFFFF
	s_cmp_lt_u32 s82, s66                                      // 00000000AEEC: BF0A4252
	s_cselect_b32 s21, s36, s60                                // 00000000AEF0: 85153C24
	s_mov_b64 exec, s[20:21]                                   // 00000000AEF4: BEFE0114
	global_atomic_add_f32 v6, v209, s[8:9]                     // 00000000AEF8: DD348000 0008D106
	global_atomic_add_f32 v6, v213, s[8:9] offset:256          // 00000000AF00: DD348100 0008D506
	s_mov_b64 exec, s[36:37]                                   // 00000000AF08: BEFE0124
	v_mov_b32_e32 v6, v80                                      // 00000000AF0C: 7E0C0350
	s_mov_b64 s[60:61], 0                                      // 00000000AF10: BEBC0180
	v_readlane_b32 s82, v3, 28                                 // 00000000AF14: D2890052 00013903
	s_and_b32 s82, s82, 0xffffff                               // 00000000AF1C: 8652FF52 00FFFFFF
	s_cmp_lt_u32 s82, s66                                      // 00000000AF24: BF0A4252
	s_cselect_b32 s20, s36, s60                                // 00000000AF28: 85143C24
	v_readlane_b32 s82, v3, 29                                 // 00000000AF2C: D2890052 00013B03
	s_and_b32 s82, s82, 0xffffff                               // 00000000AF34: 8652FF52 00FFFFFF
	s_cmp_lt_u32 s82, s66                                      // 00000000AF3C: BF0A4252
	s_cselect_b32 s21, s36, s60                                // 00000000AF40: 85153C24
	s_mov_b64 exec, s[20:21]                                   // 00000000AF44: BEFE0114
	global_atomic_add_f32 v6, v216, s[8:9]                     // 00000000AF48: DD348000 0008D806
	global_atomic_add_f32 v6, v220, s[8:9] offset:256          // 00000000AF50: DD348100 0008DC06
	s_mov_b64 exec, s[36:37]                                   // 00000000AF58: BEFE0124
	v_mov_b32_e32 v6, v81                                      // 00000000AF5C: 7E0C0351
	s_mov_b64 s[60:61], 0                                      // 00000000AF60: BEBC0180
	v_readlane_b32 s82, v3, 30                                 // 00000000AF64: D2890052 00013D03
	s_and_b32 s82, s82, 0xffffff                               // 00000000AF6C: 8652FF52 00FFFFFF
	s_cmp_lt_u32 s82, s66                                      // 00000000AF74: BF0A4252
	s_cselect_b32 s20, s36, s60                                // 00000000AF78: 85143C24
	v_readlane_b32 s82, v3, 31                                 // 00000000AF7C: D2890052 00013F03
	s_and_b32 s82, s82, 0xffffff                               // 00000000AF84: 8652FF52 00FFFFFF
	s_cmp_lt_u32 s82, s66                                      // 00000000AF8C: BF0A4252
	s_cselect_b32 s21, s36, s60                                // 00000000AF90: 85153C24
	s_mov_b64 exec, s[20:21]                                   // 00000000AF94: BEFE0114
	global_atomic_add_f32 v6, v217, s[8:9]                     // 00000000AF98: DD348000 0008D906
	global_atomic_add_f32 v6, v221, s[8:9] offset:256          // 00000000AFA0: DD348100 0008DD06
	s_mov_b64 exec, s[36:37]                                   // 00000000AFA8: BEFE0124
	v_mov_b32_e32 v6, v82                                      // 00000000AFAC: 7E0C0352
	s_mov_b64 s[60:61], 0                                      // 00000000AFB0: BEBC0180
	v_readlane_b32 s82, v3, 32                                 // 00000000AFB4: D2890052 00014103
	s_and_b32 s82, s82, 0xffffff                               // 00000000AFBC: 8652FF52 00FFFFFF
	s_cmp_lt_u32 s82, s66                                      // 00000000AFC4: BF0A4252
	s_cselect_b32 s20, s36, s60                                // 00000000AFC8: 85143C24
	v_readlane_b32 s82, v3, 33                                 // 00000000AFCC: D2890052 00014303
	s_and_b32 s82, s82, 0xffffff                               // 00000000AFD4: 8652FF52 00FFFFFF
	s_cmp_lt_u32 s82, s66                                      // 00000000AFDC: BF0A4252
	s_cselect_b32 s21, s36, s60                                // 00000000AFE0: 85153C24
	s_mov_b64 exec, s[20:21]                                   // 00000000AFE4: BEFE0114
	global_atomic_add_f32 v6, v224, s[8:9]                     // 00000000AFE8: DD348000 0008E006
	global_atomic_add_f32 v6, v228, s[8:9] offset:256          // 00000000AFF0: DD348100 0008E406
	s_mov_b64 exec, s[36:37]                                   // 00000000AFF8: BEFE0124
	v_mov_b32_e32 v6, v83                                      // 00000000AFFC: 7E0C0353
	s_mov_b64 s[60:61], 0                                      // 00000000B000: BEBC0180
	v_readlane_b32 s82, v3, 34                                 // 00000000B004: D2890052 00014503
	s_and_b32 s82, s82, 0xffffff                               // 00000000B00C: 8652FF52 00FFFFFF
	s_cmp_lt_u32 s82, s66                                      // 00000000B014: BF0A4252
	s_cselect_b32 s20, s36, s60                                // 00000000B018: 85143C24
	v_readlane_b32 s82, v3, 35                                 // 00000000B01C: D2890052 00014703
	s_and_b32 s82, s82, 0xffffff                               // 00000000B024: 8652FF52 00FFFFFF
	s_cmp_lt_u32 s82, s66                                      // 00000000B02C: BF0A4252
	s_cselect_b32 s21, s36, s60                                // 00000000B030: 85153C24
	s_mov_b64 exec, s[20:21]                                   // 00000000B034: BEFE0114
	global_atomic_add_f32 v6, v225, s[8:9]                     // 00000000B038: DD348000 0008E106
	global_atomic_add_f32 v6, v229, s[8:9] offset:256          // 00000000B040: DD348100 0008E506
	s_mov_b64 exec, s[36:37]                                   // 00000000B048: BEFE0124
	ds_write_b64 v20, v[162:163]                               // 00000000B04C: D89A0000 0000A214
	ds_write_b64 v20, v[166:167] offset:4352                   // 00000000B054: D89A1100 0000A614
	ds_write_b64 v20, v[170:171] offset:8704                   // 00000000B05C: D89A2200 0000AA14
	ds_write_b64 v20, v[174:175] offset:13056                  // 00000000B064: D89A3300 0000AE14
	ds_write_b64 v20, v[178:179] offset:17408                  // 00000000B06C: D89A4400 0000B214
	ds_write_b64 v20, v[182:183] offset:21760                  // 00000000B074: D89A5500 0000B614
	ds_write_b64 v20, v[186:187] offset:26112                  // 00000000B07C: D89A6600 0000BA14
	ds_write_b64 v20, v[190:191] offset:30464                  // 00000000B084: D89A7700 0000BE14
	ds_write_b64 v20, v[194:195] offset:34816                  // 00000000B08C: D89A8800 0000C214
	ds_write_b64 v20, v[198:199] offset:2176                   // 00000000B094: D89A0880 0000C614
	ds_write_b64 v20, v[202:203] offset:6528                   // 00000000B09C: D89A1980 0000CA14
	ds_write_b64 v20, v[206:207] offset:10880                  // 00000000B0A4: D89A2A80 0000CE14
	ds_write_b64 v20, v[210:211] offset:15232                  // 00000000B0AC: D89A3B80 0000D214
	ds_write_b64 v20, v[214:215] offset:19584                  // 00000000B0B4: D89A4C80 0000D614
	ds_write_b64 v20, v[218:219] offset:23936                  // 00000000B0BC: D89A5D80 0000DA14
	ds_write_b64 v20, v[222:223] offset:28288                  // 00000000B0C4: D89A6E80 0000DE14
	ds_write_b64 v20, v[226:227] offset:32640                  // 00000000B0CC: D89A7F80 0000E214
	ds_write_b64 v20, v[230:231] offset:36992                  // 00000000B0D4: D89A9080 0000E614
	s_waitcnt lgkmcnt(0)                                       // 00000000B0DC: BF8CC07F
	s_barrier                                                  // 00000000B0E0: BF8A0000
	ds_read_b32 v162, v21                                      // 00000000B0E4: D86C0000 A2000015
	ds_read_b32 v163, v21 offset:64                            // 00000000B0EC: D86C0040 A3000015
	ds_read_b32 v166, v21 offset:2176                          // 00000000B0F4: D86C0880 A6000015
	ds_read_b32 v167, v21 offset:2240                          // 00000000B0FC: D86C08C0 A7000015
	ds_read_b32 v170, v21 offset:4352                          // 00000000B104: D86C1100 AA000015
	ds_read_b32 v171, v21 offset:4416                          // 00000000B10C: D86C1140 AB000015
	ds_read_b32 v174, v21 offset:6528                          // 00000000B114: D86C1980 AE000015
	ds_read_b32 v175, v21 offset:6592                          // 00000000B11C: D86C19C0 AF000015
	ds_read_b32 v178, v21 offset:8704                          // 00000000B124: D86C2200 B2000015
	ds_read_b32 v179, v21 offset:8768                          // 00000000B12C: D86C2240 B3000015
	ds_read_b32 v182, v21 offset:10880                         // 00000000B134: D86C2A80 B6000015
	ds_read_b32 v183, v21 offset:10944                         // 00000000B13C: D86C2AC0 B7000015
	ds_read_b32 v186, v21 offset:13056                         // 00000000B144: D86C3300 BA000015
	ds_read_b32 v187, v21 offset:13120                         // 00000000B14C: D86C3340 BB000015
	ds_read_b32 v190, v21 offset:15232                         // 00000000B154: D86C3B80 BE000015
	ds_read_b32 v191, v21 offset:15296                         // 00000000B15C: D86C3BC0 BF000015
	ds_read_b32 v194, v21 offset:17408                         // 00000000B164: D86C4400 C2000015
	ds_read_b32 v195, v21 offset:17472                         // 00000000B16C: D86C4440 C3000015
	ds_read_b32 v198, v21 offset:19584                         // 00000000B174: D86C4C80 C6000015
	ds_read_b32 v199, v21 offset:19648                         // 00000000B17C: D86C4CC0 C7000015
	ds_read_b32 v202, v21 offset:21760                         // 00000000B184: D86C5500 CA000015
	ds_read_b32 v203, v21 offset:21824                         // 00000000B18C: D86C5540 CB000015
	ds_read_b32 v206, v21 offset:23936                         // 00000000B194: D86C5D80 CE000015
	ds_read_b32 v207, v21 offset:24000                         // 00000000B19C: D86C5DC0 CF000015
	ds_read_b32 v210, v21 offset:26112                         // 00000000B1A4: D86C6600 D2000015
	ds_read_b32 v211, v21 offset:26176                         // 00000000B1AC: D86C6640 D3000015
	ds_read_b32 v214, v21 offset:28288                         // 00000000B1B4: D86C6E80 D6000015
	ds_read_b32 v215, v21 offset:28352                         // 00000000B1BC: D86C6EC0 D7000015
	ds_read_b32 v218, v21 offset:30464                         // 00000000B1C4: D86C7700 DA000015
	ds_read_b32 v219, v21 offset:30528                         // 00000000B1CC: D86C7740 DB000015
	ds_read_b32 v222, v21 offset:32640                         // 00000000B1D4: D86C7F80 DE000015
	ds_read_b32 v223, v21 offset:32704                         // 00000000B1DC: D86C7FC0 DF000015
	ds_read_b32 v226, v21 offset:34816                         // 00000000B1E4: D86C8800 E2000015
	ds_read_b32 v227, v21 offset:34880                         // 00000000B1EC: D86C8840 E3000015
	ds_read_b32 v230, v21 offset:36992                         // 00000000B1F4: D86C9080 E6000015
	ds_read_b32 v231, v21 offset:37056                         // 00000000B1FC: D86C90C0 E7000015
	s_waitcnt lgkmcnt(0)                                       // 00000000B204: BF8CC07F
	v_mov_b32_e32 v7, 0                                        // 00000000B208: 7E0E0280
	s_mov_b64 exec, s[36:37]                                   // 00000000B20C: BEFE0124
	v_mov_b32_e32 v6, v66                                      // 00000000B210: 7E0C0342
	s_mov_b64 s[60:61], 0                                      // 00000000B214: BEBC0180
	v_readlane_b32 s82, v3, 0                                  // 00000000B218: D2890052 00010103
	s_and_b32 s82, s82, 0xffffff                               // 00000000B220: 8652FF52 00FFFFFF
	s_cmp_lt_u32 s82, s66                                      // 00000000B228: BF0A4252
	s_cselect_b32 s20, s36, s60                                // 00000000B22C: 85143C24
	v_readlane_b32 s82, v3, 1                                  // 00000000B230: D2890052 00010303
	s_and_b32 s82, s82, 0xffffff                               // 00000000B238: 8652FF52 00FFFFFF
	s_cmp_lt_u32 s82, s66                                      // 00000000B240: BF0A4252
	s_cselect_b32 s21, s36, s60                                // 00000000B244: 85153C24
	s_mov_b64 exec, s[20:21]                                   // 00000000B248: BEFE0114
	global_atomic_add_f32 v6, v162, s[8:9] offset:8            // 00000000B24C: DD348008 0008A206
	global_atomic_add_f32 v6, v166, s[8:9] offset:264          // 00000000B254: DD348108 0008A606
	s_mov_b64 exec, s[36:37]                                   // 00000000B25C: BEFE0124
	v_mov_b32_e32 v6, v67                                      // 00000000B260: 7E0C0343
	s_mov_b64 s[60:61], 0                                      // 00000000B264: BEBC0180
	v_readlane_b32 s82, v3, 2                                  // 00000000B268: D2890052 00010503
	s_and_b32 s82, s82, 0xffffff                               // 00000000B270: 8652FF52 00FFFFFF
	s_cmp_lt_u32 s82, s66                                      // 00000000B278: BF0A4252
	s_cselect_b32 s20, s36, s60                                // 00000000B27C: 85143C24
	v_readlane_b32 s82, v3, 3                                  // 00000000B280: D2890052 00010703
	s_and_b32 s82, s82, 0xffffff                               // 00000000B288: 8652FF52 00FFFFFF
	s_cmp_lt_u32 s82, s66                                      // 00000000B290: BF0A4252
	s_cselect_b32 s21, s36, s60                                // 00000000B294: 85153C24
	s_mov_b64 exec, s[20:21]                                   // 00000000B298: BEFE0114
	global_atomic_add_f32 v6, v163, s[8:9] offset:8            // 00000000B29C: DD348008 0008A306
	global_atomic_add_f32 v6, v167, s[8:9] offset:264          // 00000000B2A4: DD348108 0008A706
	s_mov_b64 exec, s[36:37]                                   // 00000000B2AC: BEFE0124
	v_mov_b32_e32 v6, v68                                      // 00000000B2B0: 7E0C0344
	s_mov_b64 s[60:61], 0                                      // 00000000B2B4: BEBC0180
	v_readlane_b32 s82, v3, 4                                  // 00000000B2B8: D2890052 00010903
	s_and_b32 s82, s82, 0xffffff                               // 00000000B2C0: 8652FF52 00FFFFFF
	s_cmp_lt_u32 s82, s66                                      // 00000000B2C8: BF0A4252
	s_cselect_b32 s20, s36, s60                                // 00000000B2CC: 85143C24
	v_readlane_b32 s82, v3, 5                                  // 00000000B2D0: D2890052 00010B03
	s_and_b32 s82, s82, 0xffffff                               // 00000000B2D8: 8652FF52 00FFFFFF
	s_cmp_lt_u32 s82, s66                                      // 00000000B2E0: BF0A4252
	s_cselect_b32 s21, s36, s60                                // 00000000B2E4: 85153C24
	s_mov_b64 exec, s[20:21]                                   // 00000000B2E8: BEFE0114
	global_atomic_add_f32 v6, v170, s[8:9] offset:8            // 00000000B2EC: DD348008 0008AA06
	global_atomic_add_f32 v6, v174, s[8:9] offset:264          // 00000000B2F4: DD348108 0008AE06
	s_mov_b64 exec, s[36:37]                                   // 00000000B2FC: BEFE0124
	v_mov_b32_e32 v6, v69                                      // 00000000B300: 7E0C0345
	s_mov_b64 s[60:61], 0                                      // 00000000B304: BEBC0180
	v_readlane_b32 s82, v3, 6                                  // 00000000B308: D2890052 00010D03
	s_and_b32 s82, s82, 0xffffff                               // 00000000B310: 8652FF52 00FFFFFF
	s_cmp_lt_u32 s82, s66                                      // 00000000B318: BF0A4252
	s_cselect_b32 s20, s36, s60                                // 00000000B31C: 85143C24
	v_readlane_b32 s82, v3, 7                                  // 00000000B320: D2890052 00010F03
	s_and_b32 s82, s82, 0xffffff                               // 00000000B328: 8652FF52 00FFFFFF
	s_cmp_lt_u32 s82, s66                                      // 00000000B330: BF0A4252
	s_cselect_b32 s21, s36, s60                                // 00000000B334: 85153C24
	s_mov_b64 exec, s[20:21]                                   // 00000000B338: BEFE0114
	global_atomic_add_f32 v6, v171, s[8:9] offset:8            // 00000000B33C: DD348008 0008AB06
	global_atomic_add_f32 v6, v175, s[8:9] offset:264          // 00000000B344: DD348108 0008AF06
	s_mov_b64 exec, s[36:37]                                   // 00000000B34C: BEFE0124
	v_mov_b32_e32 v6, v70                                      // 00000000B350: 7E0C0346
	s_mov_b64 s[60:61], 0                                      // 00000000B354: BEBC0180
	v_readlane_b32 s82, v3, 8                                  // 00000000B358: D2890052 00011103
	s_and_b32 s82, s82, 0xffffff                               // 00000000B360: 8652FF52 00FFFFFF
	s_cmp_lt_u32 s82, s66                                      // 00000000B368: BF0A4252
	s_cselect_b32 s20, s36, s60                                // 00000000B36C: 85143C24
	v_readlane_b32 s82, v3, 9                                  // 00000000B370: D2890052 00011303
	s_and_b32 s82, s82, 0xffffff                               // 00000000B378: 8652FF52 00FFFFFF
	s_cmp_lt_u32 s82, s66                                      // 00000000B380: BF0A4252
	s_cselect_b32 s21, s36, s60                                // 00000000B384: 85153C24
	s_mov_b64 exec, s[20:21]                                   // 00000000B388: BEFE0114
	global_atomic_add_f32 v6, v178, s[8:9] offset:8            // 00000000B38C: DD348008 0008B206
	global_atomic_add_f32 v6, v182, s[8:9] offset:264          // 00000000B394: DD348108 0008B606
	s_mov_b64 exec, s[36:37]                                   // 00000000B39C: BEFE0124
	v_mov_b32_e32 v6, v71                                      // 00000000B3A0: 7E0C0347
	s_mov_b64 s[60:61], 0                                      // 00000000B3A4: BEBC0180
	v_readlane_b32 s82, v3, 10                                 // 00000000B3A8: D2890052 00011503
	s_and_b32 s82, s82, 0xffffff                               // 00000000B3B0: 8652FF52 00FFFFFF
	s_cmp_lt_u32 s82, s66                                      // 00000000B3B8: BF0A4252
	s_cselect_b32 s20, s36, s60                                // 00000000B3BC: 85143C24
	v_readlane_b32 s82, v3, 11                                 // 00000000B3C0: D2890052 00011703
	s_and_b32 s82, s82, 0xffffff                               // 00000000B3C8: 8652FF52 00FFFFFF
	s_cmp_lt_u32 s82, s66                                      // 00000000B3D0: BF0A4252
	s_cselect_b32 s21, s36, s60                                // 00000000B3D4: 85153C24
	s_mov_b64 exec, s[20:21]                                   // 00000000B3D8: BEFE0114
	global_atomic_add_f32 v6, v179, s[8:9] offset:8            // 00000000B3DC: DD348008 0008B306
	global_atomic_add_f32 v6, v183, s[8:9] offset:264          // 00000000B3E4: DD348108 0008B706
	s_mov_b64 exec, s[36:37]                                   // 00000000B3EC: BEFE0124
	v_mov_b32_e32 v6, v72                                      // 00000000B3F0: 7E0C0348
	s_mov_b64 s[60:61], 0                                      // 00000000B3F4: BEBC0180
	v_readlane_b32 s82, v3, 12                                 // 00000000B3F8: D2890052 00011903
	s_and_b32 s82, s82, 0xffffff                               // 00000000B400: 8652FF52 00FFFFFF
	s_cmp_lt_u32 s82, s66                                      // 00000000B408: BF0A4252
	s_cselect_b32 s20, s36, s60                                // 00000000B40C: 85143C24
	v_readlane_b32 s82, v3, 13                                 // 00000000B410: D2890052 00011B03
	s_and_b32 s82, s82, 0xffffff                               // 00000000B418: 8652FF52 00FFFFFF
	s_cmp_lt_u32 s82, s66                                      // 00000000B420: BF0A4252
	s_cselect_b32 s21, s36, s60                                // 00000000B424: 85153C24
	s_mov_b64 exec, s[20:21]                                   // 00000000B428: BEFE0114
	global_atomic_add_f32 v6, v186, s[8:9] offset:8            // 00000000B42C: DD348008 0008BA06
	global_atomic_add_f32 v6, v190, s[8:9] offset:264          // 00000000B434: DD348108 0008BE06
	s_mov_b64 exec, s[36:37]                                   // 00000000B43C: BEFE0124
	v_mov_b32_e32 v6, v73                                      // 00000000B440: 7E0C0349
	s_mov_b64 s[60:61], 0                                      // 00000000B444: BEBC0180
	v_readlane_b32 s82, v3, 14                                 // 00000000B448: D2890052 00011D03
	s_and_b32 s82, s82, 0xffffff                               // 00000000B450: 8652FF52 00FFFFFF
	s_cmp_lt_u32 s82, s66                                      // 00000000B458: BF0A4252
	s_cselect_b32 s20, s36, s60                                // 00000000B45C: 85143C24
	v_readlane_b32 s82, v3, 15                                 // 00000000B460: D2890052 00011F03
	s_and_b32 s82, s82, 0xffffff                               // 00000000B468: 8652FF52 00FFFFFF
	s_cmp_lt_u32 s82, s66                                      // 00000000B470: BF0A4252
	s_cselect_b32 s21, s36, s60                                // 00000000B474: 85153C24
	s_mov_b64 exec, s[20:21]                                   // 00000000B478: BEFE0114
	global_atomic_add_f32 v6, v187, s[8:9] offset:8            // 00000000B47C: DD348008 0008BB06
	global_atomic_add_f32 v6, v191, s[8:9] offset:264          // 00000000B484: DD348108 0008BF06
	s_mov_b64 exec, s[36:37]                                   // 00000000B48C: BEFE0124
	v_mov_b32_e32 v6, v74                                      // 00000000B490: 7E0C034A
	s_mov_b64 s[60:61], 0                                      // 00000000B494: BEBC0180
	v_readlane_b32 s82, v3, 16                                 // 00000000B498: D2890052 00012103
	s_and_b32 s82, s82, 0xffffff                               // 00000000B4A0: 8652FF52 00FFFFFF
	s_cmp_lt_u32 s82, s66                                      // 00000000B4A8: BF0A4252
	s_cselect_b32 s20, s36, s60                                // 00000000B4AC: 85143C24
	v_readlane_b32 s82, v3, 17                                 // 00000000B4B0: D2890052 00012303
	s_and_b32 s82, s82, 0xffffff                               // 00000000B4B8: 8652FF52 00FFFFFF
	s_cmp_lt_u32 s82, s66                                      // 00000000B4C0: BF0A4252
	s_cselect_b32 s21, s36, s60                                // 00000000B4C4: 85153C24
	s_mov_b64 exec, s[20:21]                                   // 00000000B4C8: BEFE0114
	global_atomic_add_f32 v6, v194, s[8:9] offset:8            // 00000000B4CC: DD348008 0008C206
	global_atomic_add_f32 v6, v198, s[8:9] offset:264          // 00000000B4D4: DD348108 0008C606
	s_mov_b64 exec, s[36:37]                                   // 00000000B4DC: BEFE0124
	v_mov_b32_e32 v6, v75                                      // 00000000B4E0: 7E0C034B
	s_mov_b64 s[60:61], 0                                      // 00000000B4E4: BEBC0180
	v_readlane_b32 s82, v3, 18                                 // 00000000B4E8: D2890052 00012503
	s_and_b32 s82, s82, 0xffffff                               // 00000000B4F0: 8652FF52 00FFFFFF
	s_cmp_lt_u32 s82, s66                                      // 00000000B4F8: BF0A4252
	s_cselect_b32 s20, s36, s60                                // 00000000B4FC: 85143C24
	v_readlane_b32 s82, v3, 19                                 // 00000000B500: D2890052 00012703
	s_and_b32 s82, s82, 0xffffff                               // 00000000B508: 8652FF52 00FFFFFF
	s_cmp_lt_u32 s82, s66                                      // 00000000B510: BF0A4252
	s_cselect_b32 s21, s36, s60                                // 00000000B514: 85153C24
	s_mov_b64 exec, s[20:21]                                   // 00000000B518: BEFE0114
	global_atomic_add_f32 v6, v195, s[8:9] offset:8            // 00000000B51C: DD348008 0008C306
	global_atomic_add_f32 v6, v199, s[8:9] offset:264          // 00000000B524: DD348108 0008C706
	s_mov_b64 exec, s[36:37]                                   // 00000000B52C: BEFE0124
	v_mov_b32_e32 v6, v76                                      // 00000000B530: 7E0C034C
	s_mov_b64 s[60:61], 0                                      // 00000000B534: BEBC0180
	v_readlane_b32 s82, v3, 20                                 // 00000000B538: D2890052 00012903
	s_and_b32 s82, s82, 0xffffff                               // 00000000B540: 8652FF52 00FFFFFF
	s_cmp_lt_u32 s82, s66                                      // 00000000B548: BF0A4252
	s_cselect_b32 s20, s36, s60                                // 00000000B54C: 85143C24
	v_readlane_b32 s82, v3, 21                                 // 00000000B550: D2890052 00012B03
	s_and_b32 s82, s82, 0xffffff                               // 00000000B558: 8652FF52 00FFFFFF
	s_cmp_lt_u32 s82, s66                                      // 00000000B560: BF0A4252
	s_cselect_b32 s21, s36, s60                                // 00000000B564: 85153C24
	s_mov_b64 exec, s[20:21]                                   // 00000000B568: BEFE0114
	global_atomic_add_f32 v6, v202, s[8:9] offset:8            // 00000000B56C: DD348008 0008CA06
	global_atomic_add_f32 v6, v206, s[8:9] offset:264          // 00000000B574: DD348108 0008CE06
	s_mov_b64 exec, s[36:37]                                   // 00000000B57C: BEFE0124
	v_mov_b32_e32 v6, v77                                      // 00000000B580: 7E0C034D
	s_mov_b64 s[60:61], 0                                      // 00000000B584: BEBC0180
	v_readlane_b32 s82, v3, 22                                 // 00000000B588: D2890052 00012D03
	s_and_b32 s82, s82, 0xffffff                               // 00000000B590: 8652FF52 00FFFFFF
	s_cmp_lt_u32 s82, s66                                      // 00000000B598: BF0A4252
	s_cselect_b32 s20, s36, s60                                // 00000000B59C: 85143C24
	v_readlane_b32 s82, v3, 23                                 // 00000000B5A0: D2890052 00012F03
	s_and_b32 s82, s82, 0xffffff                               // 00000000B5A8: 8652FF52 00FFFFFF
	s_cmp_lt_u32 s82, s66                                      // 00000000B5B0: BF0A4252
	s_cselect_b32 s21, s36, s60                                // 00000000B5B4: 85153C24
	s_mov_b64 exec, s[20:21]                                   // 00000000B5B8: BEFE0114
	global_atomic_add_f32 v6, v203, s[8:9] offset:8            // 00000000B5BC: DD348008 0008CB06
	global_atomic_add_f32 v6, v207, s[8:9] offset:264          // 00000000B5C4: DD348108 0008CF06
	s_mov_b64 exec, s[36:37]                                   // 00000000B5CC: BEFE0124
	v_mov_b32_e32 v6, v78                                      // 00000000B5D0: 7E0C034E
	s_mov_b64 s[60:61], 0                                      // 00000000B5D4: BEBC0180
	v_readlane_b32 s82, v3, 24                                 // 00000000B5D8: D2890052 00013103
	s_and_b32 s82, s82, 0xffffff                               // 00000000B5E0: 8652FF52 00FFFFFF
	s_cmp_lt_u32 s82, s66                                      // 00000000B5E8: BF0A4252
	s_cselect_b32 s20, s36, s60                                // 00000000B5EC: 85143C24
	v_readlane_b32 s82, v3, 25                                 // 00000000B5F0: D2890052 00013303
	s_and_b32 s82, s82, 0xffffff                               // 00000000B5F8: 8652FF52 00FFFFFF
	s_cmp_lt_u32 s82, s66                                      // 00000000B600: BF0A4252
	s_cselect_b32 s21, s36, s60                                // 00000000B604: 85153C24
	s_mov_b64 exec, s[20:21]                                   // 00000000B608: BEFE0114
	global_atomic_add_f32 v6, v210, s[8:9] offset:8            // 00000000B60C: DD348008 0008D206
	global_atomic_add_f32 v6, v214, s[8:9] offset:264          // 00000000B614: DD348108 0008D606
	s_mov_b64 exec, s[36:37]                                   // 00000000B61C: BEFE0124
	v_mov_b32_e32 v6, v79                                      // 00000000B620: 7E0C034F
	s_mov_b64 s[60:61], 0                                      // 00000000B624: BEBC0180
	v_readlane_b32 s82, v3, 26                                 // 00000000B628: D2890052 00013503
	s_and_b32 s82, s82, 0xffffff                               // 00000000B630: 8652FF52 00FFFFFF
	s_cmp_lt_u32 s82, s66                                      // 00000000B638: BF0A4252
	s_cselect_b32 s20, s36, s60                                // 00000000B63C: 85143C24
	v_readlane_b32 s82, v3, 27                                 // 00000000B640: D2890052 00013703
	s_and_b32 s82, s82, 0xffffff                               // 00000000B648: 8652FF52 00FFFFFF
	s_cmp_lt_u32 s82, s66                                      // 00000000B650: BF0A4252
	s_cselect_b32 s21, s36, s60                                // 00000000B654: 85153C24
	s_mov_b64 exec, s[20:21]                                   // 00000000B658: BEFE0114
	global_atomic_add_f32 v6, v211, s[8:9] offset:8            // 00000000B65C: DD348008 0008D306
	global_atomic_add_f32 v6, v215, s[8:9] offset:264          // 00000000B664: DD348108 0008D706
	s_mov_b64 exec, s[36:37]                                   // 00000000B66C: BEFE0124
	v_mov_b32_e32 v6, v80                                      // 00000000B670: 7E0C0350
	s_mov_b64 s[60:61], 0                                      // 00000000B674: BEBC0180
	v_readlane_b32 s82, v3, 28                                 // 00000000B678: D2890052 00013903
	s_and_b32 s82, s82, 0xffffff                               // 00000000B680: 8652FF52 00FFFFFF
	s_cmp_lt_u32 s82, s66                                      // 00000000B688: BF0A4252
	s_cselect_b32 s20, s36, s60                                // 00000000B68C: 85143C24
	v_readlane_b32 s82, v3, 29                                 // 00000000B690: D2890052 00013B03
	s_and_b32 s82, s82, 0xffffff                               // 00000000B698: 8652FF52 00FFFFFF
	s_cmp_lt_u32 s82, s66                                      // 00000000B6A0: BF0A4252
	s_cselect_b32 s21, s36, s60                                // 00000000B6A4: 85153C24
	s_mov_b64 exec, s[20:21]                                   // 00000000B6A8: BEFE0114
	global_atomic_add_f32 v6, v218, s[8:9] offset:8            // 00000000B6AC: DD348008 0008DA06
	global_atomic_add_f32 v6, v222, s[8:9] offset:264          // 00000000B6B4: DD348108 0008DE06
	s_mov_b64 exec, s[36:37]                                   // 00000000B6BC: BEFE0124
	v_mov_b32_e32 v6, v81                                      // 00000000B6C0: 7E0C0351
	s_mov_b64 s[60:61], 0                                      // 00000000B6C4: BEBC0180
	v_readlane_b32 s82, v3, 30                                 // 00000000B6C8: D2890052 00013D03
	s_and_b32 s82, s82, 0xffffff                               // 00000000B6D0: 8652FF52 00FFFFFF
	s_cmp_lt_u32 s82, s66                                      // 00000000B6D8: BF0A4252
	s_cselect_b32 s20, s36, s60                                // 00000000B6DC: 85143C24
	v_readlane_b32 s82, v3, 31                                 // 00000000B6E0: D2890052 00013F03
	s_and_b32 s82, s82, 0xffffff                               // 00000000B6E8: 8652FF52 00FFFFFF
	s_cmp_lt_u32 s82, s66                                      // 00000000B6F0: BF0A4252
	s_cselect_b32 s21, s36, s60                                // 00000000B6F4: 85153C24
	s_mov_b64 exec, s[20:21]                                   // 00000000B6F8: BEFE0114
	global_atomic_add_f32 v6, v219, s[8:9] offset:8            // 00000000B6FC: DD348008 0008DB06
	global_atomic_add_f32 v6, v223, s[8:9] offset:264          // 00000000B704: DD348108 0008DF06
	s_mov_b64 exec, s[36:37]                                   // 00000000B70C: BEFE0124
	v_mov_b32_e32 v6, v82                                      // 00000000B710: 7E0C0352
	s_mov_b64 s[60:61], 0                                      // 00000000B714: BEBC0180
	v_readlane_b32 s82, v3, 32                                 // 00000000B718: D2890052 00014103
	s_and_b32 s82, s82, 0xffffff                               // 00000000B720: 8652FF52 00FFFFFF
	s_cmp_lt_u32 s82, s66                                      // 00000000B728: BF0A4252
	s_cselect_b32 s20, s36, s60                                // 00000000B72C: 85143C24
	v_readlane_b32 s82, v3, 33                                 // 00000000B730: D2890052 00014303
	s_and_b32 s82, s82, 0xffffff                               // 00000000B738: 8652FF52 00FFFFFF
	s_cmp_lt_u32 s82, s66                                      // 00000000B740: BF0A4252
	s_cselect_b32 s21, s36, s60                                // 00000000B744: 85153C24
	s_mov_b64 exec, s[20:21]                                   // 00000000B748: BEFE0114
	global_atomic_add_f32 v6, v226, s[8:9] offset:8            // 00000000B74C: DD348008 0008E206
	global_atomic_add_f32 v6, v230, s[8:9] offset:264          // 00000000B754: DD348108 0008E606
	s_mov_b64 exec, s[36:37]                                   // 00000000B75C: BEFE0124
	v_mov_b32_e32 v6, v83                                      // 00000000B760: 7E0C0353
	s_mov_b64 s[60:61], 0                                      // 00000000B764: BEBC0180
	v_readlane_b32 s82, v3, 34                                 // 00000000B768: D2890052 00014503
	s_and_b32 s82, s82, 0xffffff                               // 00000000B770: 8652FF52 00FFFFFF
	s_cmp_lt_u32 s82, s66                                      // 00000000B778: BF0A4252
	s_cselect_b32 s20, s36, s60                                // 00000000B77C: 85143C24
	v_readlane_b32 s82, v3, 35                                 // 00000000B780: D2890052 00014703
	s_and_b32 s82, s82, 0xffffff                               // 00000000B788: 8652FF52 00FFFFFF
	s_cmp_lt_u32 s82, s66                                      // 00000000B790: BF0A4252
	s_cselect_b32 s21, s36, s60                                // 00000000B794: 85153C24
	s_mov_b64 exec, s[20:21]                                   // 00000000B798: BEFE0114
	global_atomic_add_f32 v6, v227, s[8:9] offset:8            // 00000000B79C: DD348008 0008E306
	global_atomic_add_f32 v6, v231, s[8:9] offset:264          // 00000000B7A4: DD348108 0008E706
	s_mov_b64 exec, s[36:37]                                   // 00000000B7AC: BEFE0124
	s_branch label_42F6                                        // 00000000B7B0: BF821F86

000000000000b7b4 <label_2370>:
	s_waitcnt vmcnt(22) lgkmcnt(0)                             // 00000000B7B4: BF8C4076
	v_mfma_f32_16x16x32_fp8_fp8 v[88:91], a[144:145], a[0:1], v[88:91]// 00000000B7B8: D3F30058 1D620190
	buffer_load_dwordx4 a[176:179], v84, s[24:27], 0 offen     // 00000000B7C0: E05C1000 8086B054
	v_mfma_f32_16x16x32_fp8_fp8 v[88:91], a[146:147], a[2:3], v[88:91]// 00000000B7C8: D3F30058 1D620592
	v_mfma_f32_16x16x32_fp8_fp8 v[88:91], a[148:149], a[4:5], v[88:91]// 00000000B7D0: D3F30058 1D620994
	v_mfma_f32_16x16x32_fp8_fp8 v[88:91], a[150:151], a[6:7], v[88:91]// 00000000B7D8: D3F30058 1D620D96
	v_mfma_f32_16x16x32_fp8_fp8 v[124:127], a[152:153], a[0:1], v[124:127]// 00000000B7E0: D3F3007C 1DF20198
	buffer_load_dwordx4 a[180:183], v84, s[24:27], 0 offen offset:1024// 00000000B7E8: E05C1400 8086B454
	v_mfma_f32_16x16x32_fp8_fp8 v[124:127], a[154:155], a[2:3], v[124:127]// 00000000B7F0: D3F3007C 1DF2059A
	v_mfma_f32_16x16x32_fp8_fp8 v[124:127], a[156:157], a[4:5], v[124:127]// 00000000B7F8: D3F3007C 1DF2099C
	v_mfma_f32_16x16x32_fp8_fp8 v[124:127], a[158:159], a[6:7], v[124:127]// 00000000B800: D3F3007C 1DF20D9E
	v_mfma_f32_16x16x32_fp8_fp8 v[92:95], a[144:145], a[8:9], v[92:95]// 00000000B808: D3F3005C 1D721190
	buffer_load_dwordx4 a[184:187], v85, s[24:27], 0 offen     // 00000000B810: E05C1000 8086B855
	v_mfma_f32_16x16x32_fp8_fp8 v[92:95], a[146:147], a[10:11], v[92:95]// 00000000B818: D3F3005C 1D721592
	v_mfma_f32_16x16x32_fp8_fp8 v[92:95], a[148:149], a[12:13], v[92:95]// 00000000B820: D3F3005C 1D721994
	v_mfma_f32_16x16x32_fp8_fp8 v[92:95], a[150:151], a[14:15], v[92:95]// 00000000B828: D3F3005C 1D721D96
	v_mfma_f32_16x16x32_fp8_fp8 v[128:131], a[152:153], a[8:9], v[128:131]// 00000000B830: D3F30080 1E021198
	buffer_load_dwordx4 a[188:191], v85, s[24:27], 0 offen offset:1024// 00000000B838: E05C1400 8086BC55
	buffer_load_dword v66, s[20:23], 0 offen lds               // 00000000B840: E0511000 80050042
	s_add_u32 m0, 0x100, s50                                   // 00000000B848: 807C32FF 00000100
	v_mfma_f32_16x16x32_fp8_fp8 v[128:131], a[154:155], a[10:11], v[128:131]// 00000000B850: D3F30080 1E02159A
	v_mfma_f32_16x16x32_fp8_fp8 v[128:131], a[156:157], a[12:13], v[128:131]// 00000000B858: D3F30080 1E02199C
	buffer_load_dword v67, s[20:23], 0 offen lds               // 00000000B860: E0511000 80050043
	s_add_u32 m0, 0x200, s50                                   // 00000000B868: 807C32FF 00000200
	v_mfma_f32_16x16x32_fp8_fp8 v[128:131], a[158:159], a[14:15], v[128:131]// 00000000B870: D3F30080 1E021D9E
	v_mfma_f32_16x16x32_fp8_fp8 v[96:99], a[144:145], a[16:17], v[96:99]// 00000000B878: D3F30060 1D822190
	buffer_load_dword v68, s[20:23], 0 offen lds               // 00000000B880: E0511000 80050044
	s_add_u32 m0, 0x300, s50                                   // 00000000B888: 807C32FF 00000300
	v_mfma_f32_16x16x32_fp8_fp8 v[96:99], a[146:147], a[18:19], v[96:99]// 00000000B890: D3F30060 1D822592
	v_mfma_f32_16x16x32_fp8_fp8 v[96:99], a[148:149], a[20:21], v[96:99]// 00000000B898: D3F30060 1D822994
	buffer_load_dword v69, s[20:23], 0 offen lds               // 00000000B8A0: E0511000 80050045
	s_add_u32 m0, 0x400, s50                                   // 00000000B8A8: 807C32FF 00000400
	v_mfma_f32_16x16x32_fp8_fp8 v[96:99], a[150:151], a[22:23], v[96:99]// 00000000B8B0: D3F30060 1D822D96
	v_mfma_f32_16x16x32_fp8_fp8 v[132:135], a[152:153], a[16:17], v[132:135]// 00000000B8B8: D3F30084 1E122198
	buffer_load_dword v70, s[20:23], 0 offen lds               // 00000000B8C0: E0511000 80050046
	s_add_u32 m0, 0x500, s50                                   // 00000000B8C8: 807C32FF 00000500
	v_mfma_f32_16x16x32_fp8_fp8 v[132:135], a[154:155], a[18:19], v[132:135]// 00000000B8D0: D3F30084 1E12259A
	v_mfma_f32_16x16x32_fp8_fp8 v[132:135], a[156:157], a[20:21], v[132:135]// 00000000B8D8: D3F30084 1E12299C
	buffer_load_dword v71, s[20:23], 0 offen lds               // 00000000B8E0: E0511000 80050047
	s_add_u32 m0, 0x600, s50                                   // 00000000B8E8: 807C32FF 00000600
	v_mfma_f32_16x16x32_fp8_fp8 v[132:135], a[158:159], a[22:23], v[132:135]// 00000000B8F0: D3F30084 1E122D9E
	v_mfma_f32_16x16x32_fp8_fp8 v[100:103], a[144:145], a[24:25], v[100:103]// 00000000B8F8: D3F30064 1D923190
	buffer_load_dword v72, s[20:23], 0 offen lds               // 00000000B900: E0511000 80050048
	s_add_u32 m0, 0x700, s50                                   // 00000000B908: 807C32FF 00000700
	v_mfma_f32_16x16x32_fp8_fp8 v[100:103], a[146:147], a[26:27], v[100:103]// 00000000B910: D3F30064 1D923592
	v_mfma_f32_16x16x32_fp8_fp8 v[100:103], a[148:149], a[28:29], v[100:103]// 00000000B918: D3F30064 1D923994
	buffer_load_dword v73, s[20:23], 0 offen lds               // 00000000B920: E0511000 80050049
	s_add_u32 m0, 0x800, s50                                   // 00000000B928: 807C32FF 00000800
	v_mfma_f32_16x16x32_fp8_fp8 v[100:103], a[150:151], a[30:31], v[100:103]// 00000000B930: D3F30064 1D923D96
	v_mfma_f32_16x16x32_fp8_fp8 v[136:139], a[152:153], a[24:25], v[136:139]// 00000000B938: D3F30088 1E223198
	buffer_load_dword v74, s[20:23], 0 offen lds               // 00000000B940: E0511000 8005004A
	s_add_u32 m0, 0x900, s50                                   // 00000000B948: 807C32FF 00000900
	v_mfma_f32_16x16x32_fp8_fp8 v[136:139], a[154:155], a[26:27], v[136:139]// 00000000B950: D3F30088 1E22359A
	v_mfma_f32_16x16x32_fp8_fp8 v[136:139], a[156:157], a[28:29], v[136:139]// 00000000B958: D3F30088 1E22399C
	buffer_load_dword v75, s[20:23], 0 offen lds               // 00000000B960: E0511000 8005004B
	s_add_u32 m0, 0xa00, s50                                   // 00000000B968: 807C32FF 00000A00
	v_mfma_f32_16x16x32_fp8_fp8 v[136:139], a[158:159], a[30:31], v[136:139]// 00000000B970: D3F30088 1E223D9E
	v_mfma_f32_16x16x32_fp8_fp8 v[104:107], a[144:145], a[32:33], v[104:107]// 00000000B978: D3F30068 1DA24190
	buffer_load_dword v76, s[20:23], 0 offen lds               // 00000000B980: E0511000 8005004C
	s_add_u32 m0, 0xb00, s50                                   // 00000000B988: 807C32FF 00000B00
	v_mfma_f32_16x16x32_fp8_fp8 v[104:107], a[146:147], a[34:35], v[104:107]// 00000000B990: D3F30068 1DA24592
	v_mfma_f32_16x16x32_fp8_fp8 v[104:107], a[148:149], a[36:37], v[104:107]// 00000000B998: D3F30068 1DA24994
	buffer_load_dword v77, s[20:23], 0 offen lds               // 00000000B9A0: E0511000 8005004D
	s_add_u32 m0, 0xc00, s50                                   // 00000000B9A8: 807C32FF 00000C00
	v_mfma_f32_16x16x32_fp8_fp8 v[104:107], a[150:151], a[38:39], v[104:107]// 00000000B9B0: D3F30068 1DA24D96
	v_mfma_f32_16x16x32_fp8_fp8 v[140:143], a[152:153], a[32:33], v[140:143]// 00000000B9B8: D3F3008C 1E324198
	buffer_load_dword v78, s[20:23], 0 offen lds               // 00000000B9C0: E0511000 8005004E
	s_add_u32 m0, 0xd00, s50                                   // 00000000B9C8: 807C32FF 00000D00
	v_mfma_f32_16x16x32_fp8_fp8 v[140:143], a[154:155], a[34:35], v[140:143]// 00000000B9D0: D3F3008C 1E32459A
	v_mfma_f32_16x16x32_fp8_fp8 v[140:143], a[156:157], a[36:37], v[140:143]// 00000000B9D8: D3F3008C 1E32499C
	buffer_load_dword v79, s[20:23], 0 offen lds               // 00000000B9E0: E0511000 8005004F
	s_add_u32 m0, 0xe00, s50                                   // 00000000B9E8: 807C32FF 00000E00
	v_mfma_f32_16x16x32_fp8_fp8 v[140:143], a[158:159], a[38:39], v[140:143]// 00000000B9F0: D3F3008C 1E324D9E
	v_mfma_f32_16x16x32_fp8_fp8 v[108:111], a[144:145], a[40:41], v[108:111]// 00000000B9F8: D3F3006C 1DB25190
	buffer_load_dword v80, s[20:23], 0 offen lds               // 00000000BA00: E0511000 80050050
	s_add_u32 m0, 0xf00, s50                                   // 00000000BA08: 807C32FF 00000F00
	v_mfma_f32_16x16x32_fp8_fp8 v[108:111], a[146:147], a[42:43], v[108:111]// 00000000BA10: D3F3006C 1DB25592
	v_mfma_f32_16x16x32_fp8_fp8 v[108:111], a[148:149], a[44:45], v[108:111]// 00000000BA18: D3F3006C 1DB25994
	buffer_load_dword v81, s[20:23], 0 offen lds               // 00000000BA20: E0511000 80050051
	s_add_u32 m0, 0x1000, s50                                  // 00000000BA28: 807C32FF 00001000
	v_mfma_f32_16x16x32_fp8_fp8 v[108:111], a[150:151], a[46:47], v[108:111]// 00000000BA30: D3F3006C 1DB25D96
	v_mfma_f32_16x16x32_fp8_fp8 v[144:147], a[152:153], a[40:41], v[144:147]// 00000000BA38: D3F30090 1E425198
	buffer_load_dword v82, s[20:23], 0 offen lds               // 00000000BA40: E0511000 80050052
	s_add_u32 m0, 0x1100, s50                                  // 00000000BA48: 807C32FF 00001100
	v_mfma_f32_16x16x32_fp8_fp8 v[144:147], a[154:155], a[42:43], v[144:147]// 00000000BA50: D3F30090 1E42559A
	v_mfma_f32_16x16x32_fp8_fp8 v[144:147], a[156:157], a[44:45], v[144:147]// 00000000BA58: D3F30090 1E42599C
	buffer_load_dword v83, s[20:23], 0 offen lds               // 00000000BA60: E0511000 80050053
	s_add_u32 m0, 0, s48                                       // 00000000BA68: 807C3080
	v_mfma_f32_16x16x32_fp8_fp8 v[144:147], a[158:159], a[46:47], v[144:147]// 00000000BA6C: D3F30090 1E425D9E
	v_mfma_f32_16x16x32_fp8_fp8 v[112:115], a[144:145], a[48:49], v[112:115]// 00000000BA74: D3F30070 1DC26190
	v_mfma_f32_16x16x32_fp8_fp8 v[112:115], a[146:147], a[50:51], v[112:115]// 00000000BA7C: D3F30070 1DC26592
	v_mfma_f32_16x16x32_fp8_fp8 v[112:115], a[148:149], a[52:53], v[112:115]// 00000000BA84: D3F30070 1DC26994
	v_mfma_f32_16x16x32_fp8_fp8 v[112:115], a[150:151], a[54:55], v[112:115]// 00000000BA8C: D3F30070 1DC26D96
	v_mfma_f32_16x16x32_fp8_fp8 v[148:151], a[152:153], a[48:49], v[148:151]// 00000000BA94: D3F30094 1E526198
	v_mfma_f32_16x16x32_fp8_fp8 v[148:151], a[154:155], a[50:51], v[148:151]// 00000000BA9C: D3F30094 1E52659A
	v_mfma_f32_16x16x32_fp8_fp8 v[148:151], a[156:157], a[52:53], v[148:151]// 00000000BAA4: D3F30094 1E52699C
	v_mfma_f32_16x16x32_fp8_fp8 v[148:151], a[158:159], a[54:55], v[148:151]// 00000000BAAC: D3F30094 1E526D9E
	v_mfma_f32_16x16x32_fp8_fp8 v[116:119], a[144:145], a[56:57], v[116:119]// 00000000BAB4: D3F30074 1DD27190
	v_mfma_f32_16x16x32_fp8_fp8 v[116:119], a[146:147], a[58:59], v[116:119]// 00000000BABC: D3F30074 1DD27592
	v_mfma_f32_16x16x32_fp8_fp8 v[116:119], a[148:149], a[60:61], v[116:119]// 00000000BAC4: D3F30074 1DD27994
	v_mfma_f32_16x16x32_fp8_fp8 v[116:119], a[150:151], a[62:63], v[116:119]// 00000000BACC: D3F30074 1DD27D96
	v_mfma_f32_16x16x32_fp8_fp8 v[152:155], a[152:153], a[56:57], v[152:155]// 00000000BAD4: D3F30098 1E627198
	v_mfma_f32_16x16x32_fp8_fp8 v[152:155], a[154:155], a[58:59], v[152:155]// 00000000BADC: D3F30098 1E62759A
	v_mfma_f32_16x16x32_fp8_fp8 v[152:155], a[156:157], a[60:61], v[152:155]// 00000000BAE4: D3F30098 1E62799C
	v_mfma_f32_16x16x32_fp8_fp8 v[152:155], a[158:159], a[62:63], v[152:155]// 00000000BAEC: D3F30098 1E627D9E
	v_mfma_f32_16x16x32_fp8_fp8 v[120:123], a[144:145], a[64:65], v[120:123]// 00000000BAF4: D3F30078 1DE28190
	v_mfma_f32_16x16x32_fp8_fp8 v[120:123], a[146:147], a[66:67], v[120:123]// 00000000BAFC: D3F30078 1DE28592
	v_mfma_f32_16x16x32_fp8_fp8 v[120:123], a[148:149], a[68:69], v[120:123]// 00000000BB04: D3F30078 1DE28994
	v_mfma_f32_16x16x32_fp8_fp8 v[120:123], a[150:151], a[70:71], v[120:123]// 00000000BB0C: D3F30078 1DE28D96
	v_mfma_f32_16x16x32_fp8_fp8 v[156:159], a[152:153], a[64:65], v[156:159]// 00000000BB14: D3F3009C 1E728198
	v_mfma_f32_16x16x32_fp8_fp8 v[156:159], a[154:155], a[66:67], v[156:159]// 00000000BB1C: D3F3009C 1E72859A
	v_mfma_f32_16x16x32_fp8_fp8 v[156:159], a[156:157], a[68:69], v[156:159]// 00000000BB24: D3F3009C 1E72899C
	v_mfma_f32_16x16x32_fp8_fp8 v[156:159], a[158:159], a[70:71], v[156:159]// 00000000BB2C: D3F3009C 1E728D9E
	s_waitcnt vmcnt(22)                                        // 00000000BB34: BF8C4F76
	s_barrier                                                  // 00000000BB38: BF8A0000
	v_mfma_f32_16x16x32_fp8_fp8 v[160:163], a[160:161], a[0:1], v[160:163]// 00000000BB3C: D3F300A0 1E8201A0
	buffer_load_dwordx4 a[144:147], v84, s[84:87], 0 offen     // 00000000BB44: E05C1000 80959054
	v_mfma_f32_16x16x32_fp8_fp8 v[160:163], a[162:163], a[2:3], v[160:163]// 00000000BB4C: D3F300A0 1E8205A2
	v_mfma_f32_16x16x32_fp8_fp8 v[160:163], a[164:165], a[4:5], v[160:163]// 00000000BB54: D3F300A0 1E8209A4
	ds_read_b128 a[72:75], v2 offset:18560                     // 00000000BB5C: DBFE4880 48000002
	ds_read_b128 a[76:79], v2 offset:18624                     // 00000000BB64: DBFE48C0 4C000002
	v_mfma_f32_16x16x32_fp8_fp8 v[160:163], a[166:167], a[6:7], v[160:163]// 00000000BB6C: D3F300A0 1E820DA6
	v_mfma_f32_16x16x32_fp8_fp8 v[196:199], a[168:169], a[0:1], v[196:199]// 00000000BB74: D3F300C4 1F1201A8
	buffer_load_dwordx4 a[148:151], v84, s[84:87], 0 offen offset:1024// 00000000BB7C: E05C1400 80959454
	v_mfma_f32_16x16x32_fp8_fp8 v[196:199], a[170:171], a[2:3], v[196:199]// 00000000BB84: D3F300C4 1F1205AA
	v_mfma_f32_16x16x32_fp8_fp8 v[196:199], a[172:173], a[4:5], v[196:199]// 00000000BB8C: D3F300C4 1F1209AC
	ds_read_b128 a[80:83], v2 offset:19072                     // 00000000BB94: DBFE4A80 50000002
	ds_read_b128 a[84:87], v2 offset:19136                     // 00000000BB9C: DBFE4AC0 54000002
	v_mfma_f32_16x16x32_fp8_fp8 v[196:199], a[174:175], a[6:7], v[196:199]// 00000000BBA4: D3F300C4 1F120DAE
	v_mfma_f32_16x16x32_fp8_fp8 v[164:167], a[160:161], a[8:9], v[164:167]// 00000000BBAC: D3F300A4 1E9211A0
	buffer_load_dwordx4 a[152:155], v85, s[84:87], 0 offen     // 00000000BBB4: E05C1000 80959855
	v_mfma_f32_16x16x32_fp8_fp8 v[164:167], a[162:163], a[10:11], v[164:167]// 00000000BBBC: D3F300A4 1E9215A2
	v_mfma_f32_16x16x32_fp8_fp8 v[164:167], a[164:165], a[12:13], v[164:167]// 00000000BBC4: D3F300A4 1E9219A4
	ds_read_b128 a[88:91], v2 offset:19584                     // 00000000BBCC: DBFE4C80 58000002
	ds_read_b128 a[92:95], v2 offset:19648                     // 00000000BBD4: DBFE4CC0 5C000002
	v_mfma_f32_16x16x32_fp8_fp8 v[164:167], a[166:167], a[14:15], v[164:167]// 00000000BBDC: D3F300A4 1E921DA6
	v_mfma_f32_16x16x32_fp8_fp8 v[200:203], a[168:169], a[8:9], v[200:203]// 00000000BBE4: D3F300C8 1F2211A8
	buffer_load_dwordx4 a[156:159], v85, s[84:87], 0 offen offset:1024// 00000000BBEC: E05C1400 80959C55
	v_mfma_f32_16x16x32_fp8_fp8 v[200:203], a[170:171], a[10:11], v[200:203]// 00000000BBF4: D3F300C8 1F2215AA
	v_mfma_f32_16x16x32_fp8_fp8 v[200:203], a[172:173], a[12:13], v[200:203]// 00000000BBFC: D3F300C8 1F2219AC
	ds_read_b128 a[96:99], v2 offset:20096                     // 00000000BC04: DBFE4E80 60000002
	ds_read_b128 a[100:103], v2 offset:20160                   // 00000000BC0C: DBFE4EC0 64000002
	v_mfma_f32_16x16x32_fp8_fp8 v[200:203], a[174:175], a[14:15], v[200:203]// 00000000BC14: D3F300C8 1F221DAE
	v_mfma_f32_16x16x32_fp8_fp8 v[168:171], a[160:161], a[16:17], v[168:171]// 00000000BC1C: D3F300A8 1EA221A0
	v_mfma_f32_16x16x32_fp8_fp8 v[168:171], a[162:163], a[18:19], v[168:171]// 00000000BC24: D3F300A8 1EA225A2
	v_mfma_f32_16x16x32_fp8_fp8 v[168:171], a[164:165], a[20:21], v[168:171]// 00000000BC2C: D3F300A8 1EA229A4
	ds_read_b128 a[104:107], v2 offset:20608                   // 00000000BC34: DBFE5080 68000002
	ds_read_b128 a[108:111], v2 offset:20672                   // 00000000BC3C: DBFE50C0 6C000002
	v_mfma_f32_16x16x32_fp8_fp8 v[168:171], a[166:167], a[22:23], v[168:171]// 00000000BC44: D3F300A8 1EA22DA6
	v_mfma_f32_16x16x32_fp8_fp8 v[204:207], a[168:169], a[16:17], v[204:207]// 00000000BC4C: D3F300CC 1F3221A8
	v_mfma_f32_16x16x32_fp8_fp8 v[204:207], a[170:171], a[18:19], v[204:207]// 00000000BC54: D3F300CC 1F3225AA
	v_mfma_f32_16x16x32_fp8_fp8 v[204:207], a[172:173], a[20:21], v[204:207]// 00000000BC5C: D3F300CC 1F3229AC
	ds_read_b128 a[112:115], v2 offset:21120                   // 00000000BC64: DBFE5280 70000002
	ds_read_b128 a[116:119], v2 offset:21184                   // 00000000BC6C: DBFE52C0 74000002
	v_mfma_f32_16x16x32_fp8_fp8 v[204:207], a[174:175], a[22:23], v[204:207]// 00000000BC74: D3F300CC 1F322DAE
	v_mfma_f32_16x16x32_fp8_fp8 v[172:175], a[160:161], a[24:25], v[172:175]// 00000000BC7C: D3F300AC 1EB231A0
	v_mfma_f32_16x16x32_fp8_fp8 v[172:175], a[162:163], a[26:27], v[172:175]// 00000000BC84: D3F300AC 1EB235A2
	v_mfma_f32_16x16x32_fp8_fp8 v[172:175], a[164:165], a[28:29], v[172:175]// 00000000BC8C: D3F300AC 1EB239A4
	ds_read_b128 a[120:123], v2 offset:21632                   // 00000000BC94: DBFE5480 78000002
	ds_read_b128 a[124:127], v2 offset:21696                   // 00000000BC9C: DBFE54C0 7C000002
	v_mfma_f32_16x16x32_fp8_fp8 v[172:175], a[166:167], a[30:31], v[172:175]// 00000000BCA4: D3F300AC 1EB23DA6
	v_mfma_f32_16x16x32_fp8_fp8 v[208:211], a[168:169], a[24:25], v[208:211]// 00000000BCAC: D3F300D0 1F4231A8
	v_mfma_f32_16x16x32_fp8_fp8 v[208:211], a[170:171], a[26:27], v[208:211]// 00000000BCB4: D3F300D0 1F4235AA
	v_mfma_f32_16x16x32_fp8_fp8 v[208:211], a[172:173], a[28:29], v[208:211]// 00000000BCBC: D3F300D0 1F4239AC
	ds_read_b128 a[128:131], v2 offset:22144                   // 00000000BCC4: DBFE5680 80000002
	ds_read_b128 a[132:135], v2 offset:22208                   // 00000000BCCC: DBFE56C0 84000002
	v_mfma_f32_16x16x32_fp8_fp8 v[208:211], a[174:175], a[30:31], v[208:211]// 00000000BCD4: D3F300D0 1F423DAE
	v_mfma_f32_16x16x32_fp8_fp8 v[176:179], a[160:161], a[32:33], v[176:179]// 00000000BCDC: D3F300B0 1EC241A0
	v_mfma_f32_16x16x32_fp8_fp8 v[176:179], a[162:163], a[34:35], v[176:179]// 00000000BCE4: D3F300B0 1EC245A2
	v_mfma_f32_16x16x32_fp8_fp8 v[176:179], a[164:165], a[36:37], v[176:179]// 00000000BCEC: D3F300B0 1EC249A4
	ds_read_b128 a[136:139], v2 offset:22656                   // 00000000BCF4: DBFE5880 88000002
	ds_read_b128 a[140:143], v2 offset:22720                   // 00000000BCFC: DBFE58C0 8C000002
	v_mfma_f32_16x16x32_fp8_fp8 v[176:179], a[166:167], a[38:39], v[176:179]// 00000000BD04: D3F300B0 1EC24DA6
	v_mfma_f32_16x16x32_fp8_fp8 v[212:215], a[168:169], a[32:33], v[212:215]// 00000000BD0C: D3F300D4 1F5241A8
	v_mfma_f32_16x16x32_fp8_fp8 v[212:215], a[170:171], a[34:35], v[212:215]// 00000000BD14: D3F300D4 1F5245AA
	v_mfma_f32_16x16x32_fp8_fp8 v[212:215], a[172:173], a[36:37], v[212:215]// 00000000BD1C: D3F300D4 1F5249AC
	v_mfma_f32_16x16x32_fp8_fp8 v[212:215], a[174:175], a[38:39], v[212:215]// 00000000BD24: D3F300D4 1F524DAE
	v_mfma_f32_16x16x32_fp8_fp8 v[180:183], a[160:161], a[40:41], v[180:183]// 00000000BD2C: D3F300B4 1ED251A0
	v_mfma_f32_16x16x32_fp8_fp8 v[180:183], a[162:163], a[42:43], v[180:183]// 00000000BD34: D3F300B4 1ED255A2
	v_mfma_f32_16x16x32_fp8_fp8 v[180:183], a[164:165], a[44:45], v[180:183]// 00000000BD3C: D3F300B4 1ED259A4
	v_mfma_f32_16x16x32_fp8_fp8 v[180:183], a[166:167], a[46:47], v[180:183]// 00000000BD44: D3F300B4 1ED25DA6
	v_mfma_f32_16x16x32_fp8_fp8 v[216:219], a[168:169], a[40:41], v[216:219]// 00000000BD4C: D3F300D8 1F6251A8
	v_mfma_f32_16x16x32_fp8_fp8 v[216:219], a[170:171], a[42:43], v[216:219]// 00000000BD54: D3F300D8 1F6255AA
	v_mfma_f32_16x16x32_fp8_fp8 v[216:219], a[172:173], a[44:45], v[216:219]// 00000000BD5C: D3F300D8 1F6259AC
	v_mfma_f32_16x16x32_fp8_fp8 v[216:219], a[174:175], a[46:47], v[216:219]// 00000000BD64: D3F300D8 1F625DAE
	v_mfma_f32_16x16x32_fp8_fp8 v[184:187], a[160:161], a[48:49], v[184:187]// 00000000BD6C: D3F300B8 1EE261A0
	v_mfma_f32_16x16x32_fp8_fp8 v[184:187], a[162:163], a[50:51], v[184:187]// 00000000BD74: D3F300B8 1EE265A2
	v_mfma_f32_16x16x32_fp8_fp8 v[184:187], a[164:165], a[52:53], v[184:187]// 00000000BD7C: D3F300B8 1EE269A4
	v_mfma_f32_16x16x32_fp8_fp8 v[184:187], a[166:167], a[54:55], v[184:187]// 00000000BD84: D3F300B8 1EE26DA6
	v_mfma_f32_16x16x32_fp8_fp8 v[220:223], a[168:169], a[48:49], v[220:223]// 00000000BD8C: D3F300DC 1F7261A8
	v_mfma_f32_16x16x32_fp8_fp8 v[220:223], a[170:171], a[50:51], v[220:223]// 00000000BD94: D3F300DC 1F7265AA
	v_mfma_f32_16x16x32_fp8_fp8 v[220:223], a[172:173], a[52:53], v[220:223]// 00000000BD9C: D3F300DC 1F7269AC
	v_mfma_f32_16x16x32_fp8_fp8 v[220:223], a[174:175], a[54:55], v[220:223]// 00000000BDA4: D3F300DC 1F726DAE
	v_mfma_f32_16x16x32_fp8_fp8 v[188:191], a[160:161], a[56:57], v[188:191]// 00000000BDAC: D3F300BC 1EF271A0
	v_mfma_f32_16x16x32_fp8_fp8 v[188:191], a[162:163], a[58:59], v[188:191]// 00000000BDB4: D3F300BC 1EF275A2
	v_mfma_f32_16x16x32_fp8_fp8 v[188:191], a[164:165], a[60:61], v[188:191]// 00000000BDBC: D3F300BC 1EF279A4
	v_mfma_f32_16x16x32_fp8_fp8 v[188:191], a[166:167], a[62:63], v[188:191]// 00000000BDC4: D3F300BC 1EF27DA6
	v_mfma_f32_16x16x32_fp8_fp8 v[224:227], a[168:169], a[56:57], v[224:227]// 00000000BDCC: D3F300E0 1F8271A8
	v_mfma_f32_16x16x32_fp8_fp8 v[224:227], a[170:171], a[58:59], v[224:227]// 00000000BDD4: D3F300E0 1F8275AA
	v_mfma_f32_16x16x32_fp8_fp8 v[224:227], a[172:173], a[60:61], v[224:227]// 00000000BDDC: D3F300E0 1F8279AC
	v_mfma_f32_16x16x32_fp8_fp8 v[224:227], a[174:175], a[62:63], v[224:227]// 00000000BDE4: D3F300E0 1F827DAE
	v_mfma_f32_16x16x32_fp8_fp8 v[192:195], a[160:161], a[64:65], v[192:195]// 00000000BDEC: D3F300C0 1F0281A0
	s_add_u32 s60, 0x180, s80                                  // 00000000BDF4: 803C50FF 00000180
	s_cmp_lt_u32 s60, s81                                      // 00000000BDFC: BF0A513C
	s_cselect_b32 s57, s57, 0                                  // 00000000BE00: 85398039
	v_mfma_f32_16x16x32_fp8_fp8 v[192:195], a[162:163], a[66:67], v[192:195]// 00000000BE04: D3F300C0 1F0285A2
	s_add_u32 s60, 0x100, s80                                  // 00000000BE0C: 803C50FF 00000100
	s_cmp_lt_u32 s60, s81                                      // 00000000BE14: BF0A513C
	s_cselect_b32 s58, s58, 0                                  // 00000000BE18: 853A803A
	v_mfma_f32_16x16x32_fp8_fp8 v[192:195], a[164:165], a[68:69], v[192:195]// 00000000BE1C: D3F300C0 1F0289A4
	s_add_u32 s60, 0x100, s80                                  // 00000000BE24: 803C50FF 00000100
	s_cmp_lt_u32 s60, s81                                      // 00000000BE2C: BF0A513C
	s_cselect_b32 s83, s83, 0                                  // 00000000BE30: 85538053
	v_mfma_f32_16x16x32_fp8_fp8 v[192:195], a[166:167], a[70:71], v[192:195]// 00000000BE34: D3F300C0 1F028DA6
	s_add_u32 s24, s58, s24                                    // 00000000BE3C: 8018183A
	s_addc_u32 s25, 0, s25                                     // 00000000BE40: 82191980
	v_mfma_f32_16x16x32_fp8_fp8 v[228:231], a[168:169], a[64:65], v[228:231]// 00000000BE44: D3F300E4 1F9281A8
	s_add_u32 s20, s57, s20                                    // 00000000BE4C: 80141439
	s_addc_u32 s21, 0, s21                                     // 00000000BE50: 82151580
	v_mfma_f32_16x16x32_fp8_fp8 v[228:231], a[170:171], a[66:67], v[228:231]// 00000000BE54: D3F300E4 1F9285AA
	s_add_u32 s84, s83, s84                                    // 00000000BE5C: 80545453
	s_addc_u32 s85, 0, s85                                     // 00000000BE60: 82555580
	v_mfma_f32_16x16x32_fp8_fp8 v[228:231], a[172:173], a[68:69], v[228:231]// 00000000BE64: D3F300E4 1F9289AC
	v_mfma_f32_16x16x32_fp8_fp8 v[228:231], a[174:175], a[70:71], v[228:231]// 00000000BE6C: D3F300E4 1F928DAE
	s_addk_i32 s80, 0x80                                       // 00000000BE74: B7500080
	s_cmp_lt_i32 s80, s81                                      // 00000000BE78: BF045150
	s_cbranch_scc0 label_2DA3                                  // 00000000BE7C: BF840880
	s_waitcnt vmcnt(22) lgkmcnt(0)                             // 00000000BE80: BF8C4076
	v_mfma_f32_16x16x32_fp8_fp8 v[88:91], a[176:177], a[72:73], v[88:91]// 00000000BE84: D3F30058 1D6291B0
	buffer_load_dwordx4 a[160:163], v84, s[24:27], 0 offen     // 00000000BE8C: E05C1000 8086A054
	v_mfma_f32_16x16x32_fp8_fp8 v[88:91], a[178:179], a[74:75], v[88:91]// 00000000BE94: D3F30058 1D6295B2
	v_mfma_f32_16x16x32_fp8_fp8 v[88:91], a[180:181], a[76:77], v[88:91]// 00000000BE9C: D3F30058 1D6299B4
	v_mfma_f32_16x16x32_fp8_fp8 v[88:91], a[182:183], a[78:79], v[88:91]// 00000000BEA4: D3F30058 1D629DB6
	v_mfma_f32_16x16x32_fp8_fp8 v[124:127], a[184:185], a[72:73], v[124:127]// 00000000BEAC: D3F3007C 1DF291B8
	buffer_load_dwordx4 a[164:167], v84, s[24:27], 0 offen offset:1024// 00000000BEB4: E05C1400 8086A454
	v_mfma_f32_16x16x32_fp8_fp8 v[124:127], a[186:187], a[74:75], v[124:127]// 00000000BEBC: D3F3007C 1DF295BA
	v_mfma_f32_16x16x32_fp8_fp8 v[124:127], a[188:189], a[76:77], v[124:127]// 00000000BEC4: D3F3007C 1DF299BC
	v_mfma_f32_16x16x32_fp8_fp8 v[124:127], a[190:191], a[78:79], v[124:127]// 00000000BECC: D3F3007C 1DF29DBE
	v_mfma_f32_16x16x32_fp8_fp8 v[92:95], a[176:177], a[80:81], v[92:95]// 00000000BED4: D3F3005C 1D72A1B0
	buffer_load_dwordx4 a[168:171], v85, s[24:27], 0 offen     // 00000000BEDC: E05C1000 8086A855
	v_mfma_f32_16x16x32_fp8_fp8 v[92:95], a[178:179], a[82:83], v[92:95]// 00000000BEE4: D3F3005C 1D72A5B2
	v_mfma_f32_16x16x32_fp8_fp8 v[92:95], a[180:181], a[84:85], v[92:95]// 00000000BEEC: D3F3005C 1D72A9B4
	v_mfma_f32_16x16x32_fp8_fp8 v[92:95], a[182:183], a[86:87], v[92:95]// 00000000BEF4: D3F3005C 1D72ADB6
	v_mfma_f32_16x16x32_fp8_fp8 v[128:131], a[184:185], a[80:81], v[128:131]// 00000000BEFC: D3F30080 1E02A1B8
	buffer_load_dwordx4 a[172:175], v85, s[24:27], 0 offen offset:1024// 00000000BF04: E05C1400 8086AC55
	buffer_load_dword v66, s[20:23], 0 offen lds               // 00000000BF0C: E0511000 80050042
	s_add_u32 m0, 0x100, s48                                   // 00000000BF14: 807C30FF 00000100
	v_mfma_f32_16x16x32_fp8_fp8 v[128:131], a[186:187], a[82:83], v[128:131]// 00000000BF1C: D3F30080 1E02A5BA
	v_mfma_f32_16x16x32_fp8_fp8 v[128:131], a[188:189], a[84:85], v[128:131]// 00000000BF24: D3F30080 1E02A9BC
	buffer_load_dword v67, s[20:23], 0 offen lds               // 00000000BF2C: E0511000 80050043
	s_add_u32 m0, 0x200, s48                                   // 00000000BF34: 807C30FF 00000200
	v_mfma_f32_16x16x32_fp8_fp8 v[128:131], a[190:191], a[86:87], v[128:131]// 00000000BF3C: D3F30080 1E02ADBE
	v_mfma_f32_16x16x32_fp8_fp8 v[96:99], a[176:177], a[88:89], v[96:99]// 00000000BF44: D3F30060 1D82B1B0
	buffer_load_dword v68, s[20:23], 0 offen lds               // 00000000BF4C: E0511000 80050044
	s_add_u32 m0, 0x300, s48                                   // 00000000BF54: 807C30FF 00000300
	v_mfma_f32_16x16x32_fp8_fp8 v[96:99], a[178:179], a[90:91], v[96:99]// 00000000BF5C: D3F30060 1D82B5B2
	v_mfma_f32_16x16x32_fp8_fp8 v[96:99], a[180:181], a[92:93], v[96:99]// 00000000BF64: D3F30060 1D82B9B4
	buffer_load_dword v69, s[20:23], 0 offen lds               // 00000000BF6C: E0511000 80050045
	s_add_u32 m0, 0x400, s48                                   // 00000000BF74: 807C30FF 00000400
	v_mfma_f32_16x16x32_fp8_fp8 v[96:99], a[182:183], a[94:95], v[96:99]// 00000000BF7C: D3F30060 1D82BDB6
	v_mfma_f32_16x16x32_fp8_fp8 v[132:135], a[184:185], a[88:89], v[132:135]// 00000000BF84: D3F30084 1E12B1B8
	buffer_load_dword v70, s[20:23], 0 offen lds               // 00000000BF8C: E0511000 80050046
	s_add_u32 m0, 0x500, s48                                   // 00000000BF94: 807C30FF 00000500
	v_mfma_f32_16x16x32_fp8_fp8 v[132:135], a[186:187], a[90:91], v[132:135]// 00000000BF9C: D3F30084 1E12B5BA
	v_mfma_f32_16x16x32_fp8_fp8 v[132:135], a[188:189], a[92:93], v[132:135]// 00000000BFA4: D3F30084 1E12B9BC
	buffer_load_dword v71, s[20:23], 0 offen lds               // 00000000BFAC: E0511000 80050047
	s_add_u32 m0, 0x600, s48                                   // 00000000BFB4: 807C30FF 00000600
	v_mfma_f32_16x16x32_fp8_fp8 v[132:135], a[190:191], a[94:95], v[132:135]// 00000000BFBC: D3F30084 1E12BDBE
	v_mfma_f32_16x16x32_fp8_fp8 v[100:103], a[176:177], a[96:97], v[100:103]// 00000000BFC4: D3F30064 1D92C1B0
	buffer_load_dword v72, s[20:23], 0 offen lds               // 00000000BFCC: E0511000 80050048
	s_add_u32 m0, 0x700, s48                                   // 00000000BFD4: 807C30FF 00000700
	v_mfma_f32_16x16x32_fp8_fp8 v[100:103], a[178:179], a[98:99], v[100:103]// 00000000BFDC: D3F30064 1D92C5B2
	v_mfma_f32_16x16x32_fp8_fp8 v[100:103], a[180:181], a[100:101], v[100:103]// 00000000BFE4: D3F30064 1D92C9B4
	buffer_load_dword v73, s[20:23], 0 offen lds               // 00000000BFEC: E0511000 80050049
	s_add_u32 m0, 0x800, s48                                   // 00000000BFF4: 807C30FF 00000800
	v_mfma_f32_16x16x32_fp8_fp8 v[100:103], a[182:183], a[102:103], v[100:103]// 00000000BFFC: D3F30064 1D92CDB6
	v_mfma_f32_16x16x32_fp8_fp8 v[136:139], a[184:185], a[96:97], v[136:139]// 00000000C004: D3F30088 1E22C1B8
	buffer_load_dword v74, s[20:23], 0 offen lds               // 00000000C00C: E0511000 8005004A
	s_add_u32 m0, 0x900, s48                                   // 00000000C014: 807C30FF 00000900
	v_mfma_f32_16x16x32_fp8_fp8 v[136:139], a[186:187], a[98:99], v[136:139]// 00000000C01C: D3F30088 1E22C5BA
	v_mfma_f32_16x16x32_fp8_fp8 v[136:139], a[188:189], a[100:101], v[136:139]// 00000000C024: D3F30088 1E22C9BC
	buffer_load_dword v75, s[20:23], 0 offen lds               // 00000000C02C: E0511000 8005004B
	s_add_u32 m0, 0xa00, s48                                   // 00000000C034: 807C30FF 00000A00
	v_mfma_f32_16x16x32_fp8_fp8 v[136:139], a[190:191], a[102:103], v[136:139]// 00000000C03C: D3F30088 1E22CDBE
	v_mfma_f32_16x16x32_fp8_fp8 v[104:107], a[176:177], a[104:105], v[104:107]// 00000000C044: D3F30068 1DA2D1B0
	buffer_load_dword v76, s[20:23], 0 offen lds               // 00000000C04C: E0511000 8005004C
	s_add_u32 m0, 0xb00, s48                                   // 00000000C054: 807C30FF 00000B00
	v_mfma_f32_16x16x32_fp8_fp8 v[104:107], a[178:179], a[106:107], v[104:107]// 00000000C05C: D3F30068 1DA2D5B2
	v_mfma_f32_16x16x32_fp8_fp8 v[104:107], a[180:181], a[108:109], v[104:107]// 00000000C064: D3F30068 1DA2D9B4
	buffer_load_dword v77, s[20:23], 0 offen lds               // 00000000C06C: E0511000 8005004D
	s_add_u32 m0, 0xc00, s48                                   // 00000000C074: 807C30FF 00000C00
	v_mfma_f32_16x16x32_fp8_fp8 v[104:107], a[182:183], a[110:111], v[104:107]// 00000000C07C: D3F30068 1DA2DDB6
	v_mfma_f32_16x16x32_fp8_fp8 v[140:143], a[184:185], a[104:105], v[140:143]// 00000000C084: D3F3008C 1E32D1B8
	buffer_load_dword v78, s[20:23], 0 offen lds               // 00000000C08C: E0511000 8005004E
	s_add_u32 m0, 0xd00, s48                                   // 00000000C094: 807C30FF 00000D00
	v_mfma_f32_16x16x32_fp8_fp8 v[140:143], a[186:187], a[106:107], v[140:143]// 00000000C09C: D3F3008C 1E32D5BA
	v_mfma_f32_16x16x32_fp8_fp8 v[140:143], a[188:189], a[108:109], v[140:143]// 00000000C0A4: D3F3008C 1E32D9BC
	buffer_load_dword v79, s[20:23], 0 offen lds               // 00000000C0AC: E0511000 8005004F
	s_add_u32 m0, 0xe00, s48                                   // 00000000C0B4: 807C30FF 00000E00
	v_mfma_f32_16x16x32_fp8_fp8 v[140:143], a[190:191], a[110:111], v[140:143]// 00000000C0BC: D3F3008C 1E32DDBE
	v_mfma_f32_16x16x32_fp8_fp8 v[108:111], a[176:177], a[112:113], v[108:111]// 00000000C0C4: D3F3006C 1DB2E1B0
	buffer_load_dword v80, s[20:23], 0 offen lds               // 00000000C0CC: E0511000 80050050
	s_add_u32 m0, 0xf00, s48                                   // 00000000C0D4: 807C30FF 00000F00
	v_mfma_f32_16x16x32_fp8_fp8 v[108:111], a[178:179], a[114:115], v[108:111]// 00000000C0DC: D3F3006C 1DB2E5B2
	v_mfma_f32_16x16x32_fp8_fp8 v[108:111], a[180:181], a[116:117], v[108:111]// 00000000C0E4: D3F3006C 1DB2E9B4
	buffer_load_dword v81, s[20:23], 0 offen lds               // 00000000C0EC: E0511000 80050051
	s_add_u32 m0, 0x1000, s48                                  // 00000000C0F4: 807C30FF 00001000
	v_mfma_f32_16x16x32_fp8_fp8 v[108:111], a[182:183], a[118:119], v[108:111]// 00000000C0FC: D3F3006C 1DB2EDB6
	v_mfma_f32_16x16x32_fp8_fp8 v[144:147], a[184:185], a[112:113], v[144:147]// 00000000C104: D3F30090 1E42E1B8
	buffer_load_dword v82, s[20:23], 0 offen lds               // 00000000C10C: E0511000 80050052
	s_add_u32 m0, 0x1100, s48                                  // 00000000C114: 807C30FF 00001100
	v_mfma_f32_16x16x32_fp8_fp8 v[144:147], a[186:187], a[114:115], v[144:147]// 00000000C11C: D3F30090 1E42E5BA
	v_mfma_f32_16x16x32_fp8_fp8 v[144:147], a[188:189], a[116:117], v[144:147]// 00000000C124: D3F30090 1E42E9BC
	buffer_load_dword v83, s[20:23], 0 offen lds               // 00000000C12C: E0511000 80050053
	s_add_u32 m0, 0, s49                                       // 00000000C134: 807C3180
	v_mfma_f32_16x16x32_fp8_fp8 v[144:147], a[190:191], a[118:119], v[144:147]// 00000000C138: D3F30090 1E42EDBE
	v_mfma_f32_16x16x32_fp8_fp8 v[112:115], a[176:177], a[120:121], v[112:115]// 00000000C140: D3F30070 1DC2F1B0
	v_mfma_f32_16x16x32_fp8_fp8 v[112:115], a[178:179], a[122:123], v[112:115]// 00000000C148: D3F30070 1DC2F5B2
	v_mfma_f32_16x16x32_fp8_fp8 v[112:115], a[180:181], a[124:125], v[112:115]// 00000000C150: D3F30070 1DC2F9B4
	v_mfma_f32_16x16x32_fp8_fp8 v[112:115], a[182:183], a[126:127], v[112:115]// 00000000C158: D3F30070 1DC2FDB6
	v_mfma_f32_16x16x32_fp8_fp8 v[148:151], a[184:185], a[120:121], v[148:151]// 00000000C160: D3F30094 1E52F1B8
	v_mfma_f32_16x16x32_fp8_fp8 v[148:151], a[186:187], a[122:123], v[148:151]// 00000000C168: D3F30094 1E52F5BA
	v_mfma_f32_16x16x32_fp8_fp8 v[148:151], a[188:189], a[124:125], v[148:151]// 00000000C170: D3F30094 1E52F9BC
	v_mfma_f32_16x16x32_fp8_fp8 v[148:151], a[190:191], a[126:127], v[148:151]// 00000000C178: D3F30094 1E52FDBE
	v_mfma_f32_16x16x32_fp8_fp8 v[116:119], a[176:177], a[128:129], v[116:119]// 00000000C180: D3F30074 1DD301B0
	v_mfma_f32_16x16x32_fp8_fp8 v[116:119], a[178:179], a[130:131], v[116:119]// 00000000C188: D3F30074 1DD305B2
	v_mfma_f32_16x16x32_fp8_fp8 v[116:119], a[180:181], a[132:133], v[116:119]// 00000000C190: D3F30074 1DD309B4
	v_mfma_f32_16x16x32_fp8_fp8 v[116:119], a[182:183], a[134:135], v[116:119]// 00000000C198: D3F30074 1DD30DB6
	v_mfma_f32_16x16x32_fp8_fp8 v[152:155], a[184:185], a[128:129], v[152:155]// 00000000C1A0: D3F30098 1E6301B8
	v_mfma_f32_16x16x32_fp8_fp8 v[152:155], a[186:187], a[130:131], v[152:155]// 00000000C1A8: D3F30098 1E6305BA
	v_mfma_f32_16x16x32_fp8_fp8 v[152:155], a[188:189], a[132:133], v[152:155]// 00000000C1B0: D3F30098 1E6309BC
	v_mfma_f32_16x16x32_fp8_fp8 v[152:155], a[190:191], a[134:135], v[152:155]// 00000000C1B8: D3F30098 1E630DBE
	v_mfma_f32_16x16x32_fp8_fp8 v[120:123], a[176:177], a[136:137], v[120:123]// 00000000C1C0: D3F30078 1DE311B0
	v_mfma_f32_16x16x32_fp8_fp8 v[120:123], a[178:179], a[138:139], v[120:123]// 00000000C1C8: D3F30078 1DE315B2
	v_mfma_f32_16x16x32_fp8_fp8 v[120:123], a[180:181], a[140:141], v[120:123]// 00000000C1D0: D3F30078 1DE319B4
	v_mfma_f32_16x16x32_fp8_fp8 v[120:123], a[182:183], a[142:143], v[120:123]// 00000000C1D8: D3F30078 1DE31DB6
	v_mfma_f32_16x16x32_fp8_fp8 v[156:159], a[184:185], a[136:137], v[156:159]// 00000000C1E0: D3F3009C 1E7311B8
	v_mfma_f32_16x16x32_fp8_fp8 v[156:159], a[186:187], a[138:139], v[156:159]// 00000000C1E8: D3F3009C 1E7315BA
	v_mfma_f32_16x16x32_fp8_fp8 v[156:159], a[188:189], a[140:141], v[156:159]// 00000000C1F0: D3F3009C 1E7319BC
	v_mfma_f32_16x16x32_fp8_fp8 v[156:159], a[190:191], a[142:143], v[156:159]// 00000000C1F8: D3F3009C 1E731DBE
	s_waitcnt vmcnt(22)                                        // 00000000C200: BF8C4F76
	s_barrier                                                  // 00000000C204: BF8A0000
	v_mfma_f32_16x16x32_fp8_fp8 v[160:163], a[144:145], a[72:73], v[160:163]// 00000000C208: D3F300A0 1E829190
	buffer_load_dwordx4 a[176:179], v84, s[84:87], 0 offen     // 00000000C210: E05C1000 8095B054
	v_mfma_f32_16x16x32_fp8_fp8 v[160:163], a[146:147], a[74:75], v[160:163]// 00000000C218: D3F300A0 1E829592
	v_mfma_f32_16x16x32_fp8_fp8 v[160:163], a[148:149], a[76:77], v[160:163]// 00000000C220: D3F300A0 1E829994
	ds_read_b128 a[0:3], v2 offset:37120                       // 00000000C228: DBFE9100 00000002
	ds_read_b128 a[4:7], v2 offset:37184                       // 00000000C230: DBFE9140 04000002
	v_mfma_f32_16x16x32_fp8_fp8 v[160:163], a[150:151], a[78:79], v[160:163]// 00000000C238: D3F300A0 1E829D96
	v_mfma_f32_16x16x32_fp8_fp8 v[196:199], a[152:153], a[72:73], v[196:199]// 00000000C240: D3F300C4 1F129198
	buffer_load_dwordx4 a[180:183], v84, s[84:87], 0 offen offset:1024// 00000000C248: E05C1400 8095B454
	v_mfma_f32_16x16x32_fp8_fp8 v[196:199], a[154:155], a[74:75], v[196:199]// 00000000C250: D3F300C4 1F12959A
	v_mfma_f32_16x16x32_fp8_fp8 v[196:199], a[156:157], a[76:77], v[196:199]// 00000000C258: D3F300C4 1F12999C
	ds_read_b128 a[8:11], v2 offset:37632                      // 00000000C260: DBFE9300 08000002
	ds_read_b128 a[12:15], v2 offset:37696                     // 00000000C268: DBFE9340 0C000002
	v_mfma_f32_16x16x32_fp8_fp8 v[196:199], a[158:159], a[78:79], v[196:199]// 00000000C270: D3F300C4 1F129D9E
	v_mfma_f32_16x16x32_fp8_fp8 v[164:167], a[144:145], a[80:81], v[164:167]// 00000000C278: D3F300A4 1E92A190
	buffer_load_dwordx4 a[184:187], v85, s[84:87], 0 offen     // 00000000C280: E05C1000 8095B855
	v_mfma_f32_16x16x32_fp8_fp8 v[164:167], a[146:147], a[82:83], v[164:167]// 00000000C288: D3F300A4 1E92A592
	v_mfma_f32_16x16x32_fp8_fp8 v[164:167], a[148:149], a[84:85], v[164:167]// 00000000C290: D3F300A4 1E92A994
	ds_read_b128 a[16:19], v2 offset:38144                     // 00000000C298: DBFE9500 10000002
	ds_read_b128 a[20:23], v2 offset:38208                     // 00000000C2A0: DBFE9540 14000002
	v_mfma_f32_16x16x32_fp8_fp8 v[164:167], a[150:151], a[86:87], v[164:167]// 00000000C2A8: D3F300A4 1E92AD96
	v_mfma_f32_16x16x32_fp8_fp8 v[200:203], a[152:153], a[80:81], v[200:203]// 00000000C2B0: D3F300C8 1F22A198
	buffer_load_dwordx4 a[188:191], v85, s[84:87], 0 offen offset:1024// 00000000C2B8: E05C1400 8095BC55
	v_mfma_f32_16x16x32_fp8_fp8 v[200:203], a[154:155], a[82:83], v[200:203]// 00000000C2C0: D3F300C8 1F22A59A
	v_mfma_f32_16x16x32_fp8_fp8 v[200:203], a[156:157], a[84:85], v[200:203]// 00000000C2C8: D3F300C8 1F22A99C
	ds_read_b128 a[24:27], v2 offset:38656                     // 00000000C2D0: DBFE9700 18000002
	ds_read_b128 a[28:31], v2 offset:38720                     // 00000000C2D8: DBFE9740 1C000002
	v_mfma_f32_16x16x32_fp8_fp8 v[200:203], a[158:159], a[86:87], v[200:203]// 00000000C2E0: D3F300C8 1F22AD9E
	v_mfma_f32_16x16x32_fp8_fp8 v[168:171], a[144:145], a[88:89], v[168:171]// 00000000C2E8: D3F300A8 1EA2B190
	v_mfma_f32_16x16x32_fp8_fp8 v[168:171], a[146:147], a[90:91], v[168:171]// 00000000C2F0: D3F300A8 1EA2B592
	v_mfma_f32_16x16x32_fp8_fp8 v[168:171], a[148:149], a[92:93], v[168:171]// 00000000C2F8: D3F300A8 1EA2B994
	ds_read_b128 a[32:35], v2 offset:39168                     // 00000000C300: DBFE9900 20000002
	ds_read_b128 a[36:39], v2 offset:39232                     // 00000000C308: DBFE9940 24000002
	v_mfma_f32_16x16x32_fp8_fp8 v[168:171], a[150:151], a[94:95], v[168:171]// 00000000C310: D3F300A8 1EA2BD96
	v_mfma_f32_16x16x32_fp8_fp8 v[204:207], a[152:153], a[88:89], v[204:207]// 00000000C318: D3F300CC 1F32B198
	v_mfma_f32_16x16x32_fp8_fp8 v[204:207], a[154:155], a[90:91], v[204:207]// 00000000C320: D3F300CC 1F32B59A
	v_mfma_f32_16x16x32_fp8_fp8 v[204:207], a[156:157], a[92:93], v[204:207]// 00000000C328: D3F300CC 1F32B99C
	ds_read_b128 a[40:43], v2 offset:39680                     // 00000000C330: DBFE9B00 28000002
	ds_read_b128 a[44:47], v2 offset:39744                     // 00000000C338: DBFE9B40 2C000002
	v_mfma_f32_16x16x32_fp8_fp8 v[204:207], a[158:159], a[94:95], v[204:207]// 00000000C340: D3F300CC 1F32BD9E
	v_mfma_f32_16x16x32_fp8_fp8 v[172:175], a[144:145], a[96:97], v[172:175]// 00000000C348: D3F300AC 1EB2C190
	v_mfma_f32_16x16x32_fp8_fp8 v[172:175], a[146:147], a[98:99], v[172:175]// 00000000C350: D3F300AC 1EB2C592
	v_mfma_f32_16x16x32_fp8_fp8 v[172:175], a[148:149], a[100:101], v[172:175]// 00000000C358: D3F300AC 1EB2C994
	ds_read_b128 a[48:51], v2 offset:40192                     // 00000000C360: DBFE9D00 30000002
	ds_read_b128 a[52:55], v2 offset:40256                     // 00000000C368: DBFE9D40 34000002
	v_mfma_f32_16x16x32_fp8_fp8 v[172:175], a[150:151], a[102:103], v[172:175]// 00000000C370: D3F300AC 1EB2CD96
	v_mfma_f32_16x16x32_fp8_fp8 v[208:211], a[152:153], a[96:97], v[208:211]// 00000000C378: D3F300D0 1F42C198
	v_mfma_f32_16x16x32_fp8_fp8 v[208:211], a[154:155], a[98:99], v[208:211]// 00000000C380: D3F300D0 1F42C59A
	v_mfma_f32_16x16x32_fp8_fp8 v[208:211], a[156:157], a[100:101], v[208:211]// 00000000C388: D3F300D0 1F42C99C
	ds_read_b128 a[56:59], v2 offset:40704                     // 00000000C390: DBFE9F00 38000002
	ds_read_b128 a[60:63], v2 offset:40768                     // 00000000C398: DBFE9F40 3C000002
	v_mfma_f32_16x16x32_fp8_fp8 v[208:211], a[158:159], a[102:103], v[208:211]// 00000000C3A0: D3F300D0 1F42CD9E
	v_mfma_f32_16x16x32_fp8_fp8 v[176:179], a[144:145], a[104:105], v[176:179]// 00000000C3A8: D3F300B0 1EC2D190
	v_mfma_f32_16x16x32_fp8_fp8 v[176:179], a[146:147], a[106:107], v[176:179]// 00000000C3B0: D3F300B0 1EC2D592
	v_mfma_f32_16x16x32_fp8_fp8 v[176:179], a[148:149], a[108:109], v[176:179]// 00000000C3B8: D3F300B0 1EC2D994
	ds_read_b128 a[64:67], v2 offset:41216                     // 00000000C3C0: DBFEA100 40000002
	ds_read_b128 a[68:71], v2 offset:41280                     // 00000000C3C8: DBFEA140 44000002
	v_mfma_f32_16x16x32_fp8_fp8 v[176:179], a[150:151], a[110:111], v[176:179]// 00000000C3D0: D3F300B0 1EC2DD96
	v_mfma_f32_16x16x32_fp8_fp8 v[212:215], a[152:153], a[104:105], v[212:215]// 00000000C3D8: D3F300D4 1F52D198
	v_mfma_f32_16x16x32_fp8_fp8 v[212:215], a[154:155], a[106:107], v[212:215]// 00000000C3E0: D3F300D4 1F52D59A
	v_mfma_f32_16x16x32_fp8_fp8 v[212:215], a[156:157], a[108:109], v[212:215]// 00000000C3E8: D3F300D4 1F52D99C
	v_mfma_f32_16x16x32_fp8_fp8 v[212:215], a[158:159], a[110:111], v[212:215]// 00000000C3F0: D3F300D4 1F52DD9E
	v_mfma_f32_16x16x32_fp8_fp8 v[180:183], a[144:145], a[112:113], v[180:183]// 00000000C3F8: D3F300B4 1ED2E190
	v_mfma_f32_16x16x32_fp8_fp8 v[180:183], a[146:147], a[114:115], v[180:183]// 00000000C400: D3F300B4 1ED2E592
	v_mfma_f32_16x16x32_fp8_fp8 v[180:183], a[148:149], a[116:117], v[180:183]// 00000000C408: D3F300B4 1ED2E994
	v_mfma_f32_16x16x32_fp8_fp8 v[180:183], a[150:151], a[118:119], v[180:183]// 00000000C410: D3F300B4 1ED2ED96
	v_mfma_f32_16x16x32_fp8_fp8 v[216:219], a[152:153], a[112:113], v[216:219]// 00000000C418: D3F300D8 1F62E198
	v_mfma_f32_16x16x32_fp8_fp8 v[216:219], a[154:155], a[114:115], v[216:219]// 00000000C420: D3F300D8 1F62E59A
	v_mfma_f32_16x16x32_fp8_fp8 v[216:219], a[156:157], a[116:117], v[216:219]// 00000000C428: D3F300D8 1F62E99C
	v_mfma_f32_16x16x32_fp8_fp8 v[216:219], a[158:159], a[118:119], v[216:219]// 00000000C430: D3F300D8 1F62ED9E
	v_mfma_f32_16x16x32_fp8_fp8 v[184:187], a[144:145], a[120:121], v[184:187]// 00000000C438: D3F300B8 1EE2F190
	v_mfma_f32_16x16x32_fp8_fp8 v[184:187], a[146:147], a[122:123], v[184:187]// 00000000C440: D3F300B8 1EE2F592
	v_mfma_f32_16x16x32_fp8_fp8 v[184:187], a[148:149], a[124:125], v[184:187]// 00000000C448: D3F300B8 1EE2F994
	v_mfma_f32_16x16x32_fp8_fp8 v[184:187], a[150:151], a[126:127], v[184:187]// 00000000C450: D3F300B8 1EE2FD96
	v_mfma_f32_16x16x32_fp8_fp8 v[220:223], a[152:153], a[120:121], v[220:223]// 00000000C458: D3F300DC 1F72F198
	v_mfma_f32_16x16x32_fp8_fp8 v[220:223], a[154:155], a[122:123], v[220:223]// 00000000C460: D3F300DC 1F72F59A
	v_mfma_f32_16x16x32_fp8_fp8 v[220:223], a[156:157], a[124:125], v[220:223]// 00000000C468: D3F300DC 1F72F99C
	v_mfma_f32_16x16x32_fp8_fp8 v[220:223], a[158:159], a[126:127], v[220:223]// 00000000C470: D3F300DC 1F72FD9E
	v_mfma_f32_16x16x32_fp8_fp8 v[188:191], a[144:145], a[128:129], v[188:191]// 00000000C478: D3F300BC 1EF30190
	v_mfma_f32_16x16x32_fp8_fp8 v[188:191], a[146:147], a[130:131], v[188:191]// 00000000C480: D3F300BC 1EF30592
	v_mfma_f32_16x16x32_fp8_fp8 v[188:191], a[148:149], a[132:133], v[188:191]// 00000000C488: D3F300BC 1EF30994
	v_mfma_f32_16x16x32_fp8_fp8 v[188:191], a[150:151], a[134:135], v[188:191]// 00000000C490: D3F300BC 1EF30D96
	v_mfma_f32_16x16x32_fp8_fp8 v[224:227], a[152:153], a[128:129], v[224:227]// 00000000C498: D3F300E0 1F830198
	v_mfma_f32_16x16x32_fp8_fp8 v[224:227], a[154:155], a[130:131], v[224:227]// 00000000C4A0: D3F300E0 1F83059A
	v_mfma_f32_16x16x32_fp8_fp8 v[224:227], a[156:157], a[132:133], v[224:227]// 00000000C4A8: D3F300E0 1F83099C
	v_mfma_f32_16x16x32_fp8_fp8 v[224:227], a[158:159], a[134:135], v[224:227]// 00000000C4B0: D3F300E0 1F830D9E
	v_mfma_f32_16x16x32_fp8_fp8 v[192:195], a[144:145], a[136:137], v[192:195]// 00000000C4B8: D3F300C0 1F031190
	s_add_u32 s60, 0x180, s80                                  // 00000000C4C0: 803C50FF 00000180
	s_cmp_lt_u32 s60, s81                                      // 00000000C4C8: BF0A513C
	s_cselect_b32 s57, s57, 0                                  // 00000000C4CC: 85398039
	v_mfma_f32_16x16x32_fp8_fp8 v[192:195], a[146:147], a[138:139], v[192:195]// 00000000C4D0: D3F300C0 1F031592
	s_add_u32 s60, 0x100, s80                                  // 00000000C4D8: 803C50FF 00000100
	s_cmp_lt_u32 s60, s81                                      // 00000000C4E0: BF0A513C
	s_cselect_b32 s58, s58, 0                                  // 00000000C4E4: 853A803A
	v_mfma_f32_16x16x32_fp8_fp8 v[192:195], a[148:149], a[140:141], v[192:195]// 00000000C4E8: D3F300C0 1F031994
	s_add_u32 s60, 0x100, s80                                  // 00000000C4F0: 803C50FF 00000100
	s_cmp_lt_u32 s60, s81                                      // 00000000C4F8: BF0A513C
	s_cselect_b32 s83, s83, 0                                  // 00000000C4FC: 85538053
	v_mfma_f32_16x16x32_fp8_fp8 v[192:195], a[150:151], a[142:143], v[192:195]// 00000000C500: D3F300C0 1F031D96
	s_add_u32 s24, s58, s24                                    // 00000000C508: 8018183A
	s_addc_u32 s25, 0, s25                                     // 00000000C50C: 82191980
	v_mfma_f32_16x16x32_fp8_fp8 v[228:231], a[152:153], a[136:137], v[228:231]// 00000000C510: D3F300E4 1F931198
	s_add_u32 s20, s57, s20                                    // 00000000C518: 80141439
	s_addc_u32 s21, 0, s21                                     // 00000000C51C: 82151580
	v_mfma_f32_16x16x32_fp8_fp8 v[228:231], a[154:155], a[138:139], v[228:231]// 00000000C520: D3F300E4 1F93159A
	s_add_u32 s84, s83, s84                                    // 00000000C528: 80545453
	s_addc_u32 s85, 0, s85                                     // 00000000C52C: 82555580
	v_mfma_f32_16x16x32_fp8_fp8 v[228:231], a[156:157], a[140:141], v[228:231]// 00000000C530: D3F300E4 1F93199C
	v_mfma_f32_16x16x32_fp8_fp8 v[228:231], a[158:159], a[142:143], v[228:231]// 00000000C538: D3F300E4 1F931D9E
	s_addk_i32 s80, 0x80                                       // 00000000C540: B7500080
	s_cmp_lt_i32 s80, s81                                      // 00000000C544: BF045150
	s_cbranch_scc0 label_2DA3                                  // 00000000C548: BF8406CD
	s_waitcnt vmcnt(22) lgkmcnt(0)                             // 00000000C54C: BF8C4076
	v_mfma_f32_16x16x32_fp8_fp8 v[88:91], a[160:161], a[0:1], v[88:91]// 00000000C550: D3F30058 1D6201A0
	buffer_load_dwordx4 a[144:147], v84, s[24:27], 0 offen     // 00000000C558: E05C1000 80869054
	v_mfma_f32_16x16x32_fp8_fp8 v[88:91], a[162:163], a[2:3], v[88:91]// 00000000C560: D3F30058 1D6205A2
	v_mfma_f32_16x16x32_fp8_fp8 v[88:91], a[164:165], a[4:5], v[88:91]// 00000000C568: D3F30058 1D6209A4
	v_mfma_f32_16x16x32_fp8_fp8 v[88:91], a[166:167], a[6:7], v[88:91]// 00000000C570: D3F30058 1D620DA6
	v_mfma_f32_16x16x32_fp8_fp8 v[124:127], a[168:169], a[0:1], v[124:127]// 00000000C578: D3F3007C 1DF201A8
	buffer_load_dwordx4 a[148:151], v84, s[24:27], 0 offen offset:1024// 00000000C580: E05C1400 80869454
	v_mfma_f32_16x16x32_fp8_fp8 v[124:127], a[170:171], a[2:3], v[124:127]// 00000000C588: D3F3007C 1DF205AA
	v_mfma_f32_16x16x32_fp8_fp8 v[124:127], a[172:173], a[4:5], v[124:127]// 00000000C590: D3F3007C 1DF209AC
	v_mfma_f32_16x16x32_fp8_fp8 v[124:127], a[174:175], a[6:7], v[124:127]// 00000000C598: D3F3007C 1DF20DAE
	v_mfma_f32_16x16x32_fp8_fp8 v[92:95], a[160:161], a[8:9], v[92:95]// 00000000C5A0: D3F3005C 1D7211A0
	buffer_load_dwordx4 a[152:155], v85, s[24:27], 0 offen     // 00000000C5A8: E05C1000 80869855
	v_mfma_f32_16x16x32_fp8_fp8 v[92:95], a[162:163], a[10:11], v[92:95]// 00000000C5B0: D3F3005C 1D7215A2
	v_mfma_f32_16x16x32_fp8_fp8 v[92:95], a[164:165], a[12:13], v[92:95]// 00000000C5B8: D3F3005C 1D7219A4
	v_mfma_f32_16x16x32_fp8_fp8 v[92:95], a[166:167], a[14:15], v[92:95]// 00000000C5C0: D3F3005C 1D721DA6
	v_mfma_f32_16x16x32_fp8_fp8 v[128:131], a[168:169], a[8:9], v[128:131]// 00000000C5C8: D3F30080 1E0211A8
	buffer_load_dwordx4 a[156:159], v85, s[24:27], 0 offen offset:1024// 00000000C5D0: E05C1400 80869C55
	buffer_load_dword v66, s[20:23], 0 offen lds               // 00000000C5D8: E0511000 80050042
	s_add_u32 m0, 0x100, s49                                   // 00000000C5E0: 807C31FF 00000100
	v_mfma_f32_16x16x32_fp8_fp8 v[128:131], a[170:171], a[10:11], v[128:131]// 00000000C5E8: D3F30080 1E0215AA
	v_mfma_f32_16x16x32_fp8_fp8 v[128:131], a[172:173], a[12:13], v[128:131]// 00000000C5F0: D3F30080 1E0219AC
	buffer_load_dword v67, s[20:23], 0 offen lds               // 00000000C5F8: E0511000 80050043
	s_add_u32 m0, 0x200, s49                                   // 00000000C600: 807C31FF 00000200
	v_mfma_f32_16x16x32_fp8_fp8 v[128:131], a[174:175], a[14:15], v[128:131]// 00000000C608: D3F30080 1E021DAE
	v_mfma_f32_16x16x32_fp8_fp8 v[96:99], a[160:161], a[16:17], v[96:99]// 00000000C610: D3F30060 1D8221A0
	buffer_load_dword v68, s[20:23], 0 offen lds               // 00000000C618: E0511000 80050044
	s_add_u32 m0, 0x300, s49                                   // 00000000C620: 807C31FF 00000300
	v_mfma_f32_16x16x32_fp8_fp8 v[96:99], a[162:163], a[18:19], v[96:99]// 00000000C628: D3F30060 1D8225A2
	v_mfma_f32_16x16x32_fp8_fp8 v[96:99], a[164:165], a[20:21], v[96:99]// 00000000C630: D3F30060 1D8229A4
	buffer_load_dword v69, s[20:23], 0 offen lds               // 00000000C638: E0511000 80050045
	s_add_u32 m0, 0x400, s49                                   // 00000000C640: 807C31FF 00000400
	v_mfma_f32_16x16x32_fp8_fp8 v[96:99], a[166:167], a[22:23], v[96:99]// 00000000C648: D3F30060 1D822DA6
	v_mfma_f32_16x16x32_fp8_fp8 v[132:135], a[168:169], a[16:17], v[132:135]// 00000000C650: D3F30084 1E1221A8
	buffer_load_dword v70, s[20:23], 0 offen lds               // 00000000C658: E0511000 80050046
	s_add_u32 m0, 0x500, s49                                   // 00000000C660: 807C31FF 00000500
	v_mfma_f32_16x16x32_fp8_fp8 v[132:135], a[170:171], a[18:19], v[132:135]// 00000000C668: D3F30084 1E1225AA
	v_mfma_f32_16x16x32_fp8_fp8 v[132:135], a[172:173], a[20:21], v[132:135]// 00000000C670: D3F30084 1E1229AC
	buffer_load_dword v71, s[20:23], 0 offen lds               // 00000000C678: E0511000 80050047
	s_add_u32 m0, 0x600, s49                                   // 00000000C680: 807C31FF 00000600
	v_mfma_f32_16x16x32_fp8_fp8 v[132:135], a[174:175], a[22:23], v[132:135]// 00000000C688: D3F30084 1E122DAE
	v_mfma_f32_16x16x32_fp8_fp8 v[100:103], a[160:161], a[24:25], v[100:103]// 00000000C690: D3F30064 1D9231A0
	buffer_load_dword v72, s[20:23], 0 offen lds               // 00000000C698: E0511000 80050048
	s_add_u32 m0, 0x700, s49                                   // 00000000C6A0: 807C31FF 00000700
	v_mfma_f32_16x16x32_fp8_fp8 v[100:103], a[162:163], a[26:27], v[100:103]// 00000000C6A8: D3F30064 1D9235A2
	v_mfma_f32_16x16x32_fp8_fp8 v[100:103], a[164:165], a[28:29], v[100:103]// 00000000C6B0: D3F30064 1D9239A4
	buffer_load_dword v73, s[20:23], 0 offen lds               // 00000000C6B8: E0511000 80050049
	s_add_u32 m0, 0x800, s49                                   // 00000000C6C0: 807C31FF 00000800
	v_mfma_f32_16x16x32_fp8_fp8 v[100:103], a[166:167], a[30:31], v[100:103]// 00000000C6C8: D3F30064 1D923DA6
	v_mfma_f32_16x16x32_fp8_fp8 v[136:139], a[168:169], a[24:25], v[136:139]// 00000000C6D0: D3F30088 1E2231A8
	buffer_load_dword v74, s[20:23], 0 offen lds               // 00000000C6D8: E0511000 8005004A
	s_add_u32 m0, 0x900, s49                                   // 00000000C6E0: 807C31FF 00000900
	v_mfma_f32_16x16x32_fp8_fp8 v[136:139], a[170:171], a[26:27], v[136:139]// 00000000C6E8: D3F30088 1E2235AA
	v_mfma_f32_16x16x32_fp8_fp8 v[136:139], a[172:173], a[28:29], v[136:139]// 00000000C6F0: D3F30088 1E2239AC
	buffer_load_dword v75, s[20:23], 0 offen lds               // 00000000C6F8: E0511000 8005004B
	s_add_u32 m0, 0xa00, s49                                   // 00000000C700: 807C31FF 00000A00
	v_mfma_f32_16x16x32_fp8_fp8 v[136:139], a[174:175], a[30:31], v[136:139]// 00000000C708: D3F30088 1E223DAE
	v_mfma_f32_16x16x32_fp8_fp8 v[104:107], a[160:161], a[32:33], v[104:107]// 00000000C710: D3F30068 1DA241A0
	buffer_load_dword v76, s[20:23], 0 offen lds               // 00000000C718: E0511000 8005004C
	s_add_u32 m0, 0xb00, s49                                   // 00000000C720: 807C31FF 00000B00
	v_mfma_f32_16x16x32_fp8_fp8 v[104:107], a[162:163], a[34:35], v[104:107]// 00000000C728: D3F30068 1DA245A2
	v_mfma_f32_16x16x32_fp8_fp8 v[104:107], a[164:165], a[36:37], v[104:107]// 00000000C730: D3F30068 1DA249A4
	buffer_load_dword v77, s[20:23], 0 offen lds               // 00000000C738: E0511000 8005004D
	s_add_u32 m0, 0xc00, s49                                   // 00000000C740: 807C31FF 00000C00
	v_mfma_f32_16x16x32_fp8_fp8 v[104:107], a[166:167], a[38:39], v[104:107]// 00000000C748: D3F30068 1DA24DA6
	v_mfma_f32_16x16x32_fp8_fp8 v[140:143], a[168:169], a[32:33], v[140:143]// 00000000C750: D3F3008C 1E3241A8
	buffer_load_dword v78, s[20:23], 0 offen lds               // 00000000C758: E0511000 8005004E
	s_add_u32 m0, 0xd00, s49                                   // 00000000C760: 807C31FF 00000D00
	v_mfma_f32_16x16x32_fp8_fp8 v[140:143], a[170:171], a[34:35], v[140:143]// 00000000C768: D3F3008C 1E3245AA
	v_mfma_f32_16x16x32_fp8_fp8 v[140:143], a[172:173], a[36:37], v[140:143]// 00000000C770: D3F3008C 1E3249AC
	buffer_load_dword v79, s[20:23], 0 offen lds               // 00000000C778: E0511000 8005004F
	s_add_u32 m0, 0xe00, s49                                   // 00000000C780: 807C31FF 00000E00
	v_mfma_f32_16x16x32_fp8_fp8 v[140:143], a[174:175], a[38:39], v[140:143]// 00000000C788: D3F3008C 1E324DAE
	v_mfma_f32_16x16x32_fp8_fp8 v[108:111], a[160:161], a[40:41], v[108:111]// 00000000C790: D3F3006C 1DB251A0
	buffer_load_dword v80, s[20:23], 0 offen lds               // 00000000C798: E0511000 80050050
	s_add_u32 m0, 0xf00, s49                                   // 00000000C7A0: 807C31FF 00000F00
	v_mfma_f32_16x16x32_fp8_fp8 v[108:111], a[162:163], a[42:43], v[108:111]// 00000000C7A8: D3F3006C 1DB255A2
	v_mfma_f32_16x16x32_fp8_fp8 v[108:111], a[164:165], a[44:45], v[108:111]// 00000000C7B0: D3F3006C 1DB259A4
	buffer_load_dword v81, s[20:23], 0 offen lds               // 00000000C7B8: E0511000 80050051
	s_add_u32 m0, 0x1000, s49                                  // 00000000C7C0: 807C31FF 00001000
	v_mfma_f32_16x16x32_fp8_fp8 v[108:111], a[166:167], a[46:47], v[108:111]// 00000000C7C8: D3F3006C 1DB25DA6
	v_mfma_f32_16x16x32_fp8_fp8 v[144:147], a[168:169], a[40:41], v[144:147]// 00000000C7D0: D3F30090 1E4251A8
	buffer_load_dword v82, s[20:23], 0 offen lds               // 00000000C7D8: E0511000 80050052
	s_add_u32 m0, 0x1100, s49                                  // 00000000C7E0: 807C31FF 00001100
	v_mfma_f32_16x16x32_fp8_fp8 v[144:147], a[170:171], a[42:43], v[144:147]// 00000000C7E8: D3F30090 1E4255AA
	v_mfma_f32_16x16x32_fp8_fp8 v[144:147], a[172:173], a[44:45], v[144:147]// 00000000C7F0: D3F30090 1E4259AC
	buffer_load_dword v83, s[20:23], 0 offen lds               // 00000000C7F8: E0511000 80050053
	s_add_u32 m0, 0, s50                                       // 00000000C800: 807C3280
	v_mfma_f32_16x16x32_fp8_fp8 v[144:147], a[174:175], a[46:47], v[144:147]// 00000000C804: D3F30090 1E425DAE
	v_mfma_f32_16x16x32_fp8_fp8 v[112:115], a[160:161], a[48:49], v[112:115]// 00000000C80C: D3F30070 1DC261A0
	v_mfma_f32_16x16x32_fp8_fp8 v[112:115], a[162:163], a[50:51], v[112:115]// 00000000C814: D3F30070 1DC265A2
	v_mfma_f32_16x16x32_fp8_fp8 v[112:115], a[164:165], a[52:53], v[112:115]// 00000000C81C: D3F30070 1DC269A4
	v_mfma_f32_16x16x32_fp8_fp8 v[112:115], a[166:167], a[54:55], v[112:115]// 00000000C824: D3F30070 1DC26DA6
	v_mfma_f32_16x16x32_fp8_fp8 v[148:151], a[168:169], a[48:49], v[148:151]// 00000000C82C: D3F30094 1E5261A8
	v_mfma_f32_16x16x32_fp8_fp8 v[148:151], a[170:171], a[50:51], v[148:151]// 00000000C834: D3F30094 1E5265AA
	v_mfma_f32_16x16x32_fp8_fp8 v[148:151], a[172:173], a[52:53], v[148:151]// 00000000C83C: D3F30094 1E5269AC
	v_mfma_f32_16x16x32_fp8_fp8 v[148:151], a[174:175], a[54:55], v[148:151]// 00000000C844: D3F30094 1E526DAE
	v_mfma_f32_16x16x32_fp8_fp8 v[116:119], a[160:161], a[56:57], v[116:119]// 00000000C84C: D3F30074 1DD271A0
	v_mfma_f32_16x16x32_fp8_fp8 v[116:119], a[162:163], a[58:59], v[116:119]// 00000000C854: D3F30074 1DD275A2
	v_mfma_f32_16x16x32_fp8_fp8 v[116:119], a[164:165], a[60:61], v[116:119]// 00000000C85C: D3F30074 1DD279A4
	v_mfma_f32_16x16x32_fp8_fp8 v[116:119], a[166:167], a[62:63], v[116:119]// 00000000C864: D3F30074 1DD27DA6
	v_mfma_f32_16x16x32_fp8_fp8 v[152:155], a[168:169], a[56:57], v[152:155]// 00000000C86C: D3F30098 1E6271A8
	v_mfma_f32_16x16x32_fp8_fp8 v[152:155], a[170:171], a[58:59], v[152:155]// 00000000C874: D3F30098 1E6275AA
	v_mfma_f32_16x16x32_fp8_fp8 v[152:155], a[172:173], a[60:61], v[152:155]// 00000000C87C: D3F30098 1E6279AC
	v_mfma_f32_16x16x32_fp8_fp8 v[152:155], a[174:175], a[62:63], v[152:155]// 00000000C884: D3F30098 1E627DAE
	v_mfma_f32_16x16x32_fp8_fp8 v[120:123], a[160:161], a[64:65], v[120:123]// 00000000C88C: D3F30078 1DE281A0
	v_mfma_f32_16x16x32_fp8_fp8 v[120:123], a[162:163], a[66:67], v[120:123]// 00000000C894: D3F30078 1DE285A2
	v_mfma_f32_16x16x32_fp8_fp8 v[120:123], a[164:165], a[68:69], v[120:123]// 00000000C89C: D3F30078 1DE289A4
	v_mfma_f32_16x16x32_fp8_fp8 v[120:123], a[166:167], a[70:71], v[120:123]// 00000000C8A4: D3F30078 1DE28DA6
	v_mfma_f32_16x16x32_fp8_fp8 v[156:159], a[168:169], a[64:65], v[156:159]// 00000000C8AC: D3F3009C 1E7281A8
	v_mfma_f32_16x16x32_fp8_fp8 v[156:159], a[170:171], a[66:67], v[156:159]// 00000000C8B4: D3F3009C 1E7285AA
	v_mfma_f32_16x16x32_fp8_fp8 v[156:159], a[172:173], a[68:69], v[156:159]// 00000000C8BC: D3F3009C 1E7289AC
	v_mfma_f32_16x16x32_fp8_fp8 v[156:159], a[174:175], a[70:71], v[156:159]// 00000000C8C4: D3F3009C 1E728DAE
	s_waitcnt vmcnt(22)                                        // 00000000C8CC: BF8C4F76
	s_barrier                                                  // 00000000C8D0: BF8A0000
	v_mfma_f32_16x16x32_fp8_fp8 v[160:163], a[176:177], a[0:1], v[160:163]// 00000000C8D4: D3F300A0 1E8201B0
	buffer_load_dwordx4 a[160:163], v84, s[84:87], 0 offen     // 00000000C8DC: E05C1000 8095A054
	v_mfma_f32_16x16x32_fp8_fp8 v[160:163], a[178:179], a[2:3], v[160:163]// 00000000C8E4: D3F300A0 1E8205B2
	v_mfma_f32_16x16x32_fp8_fp8 v[160:163], a[180:181], a[4:5], v[160:163]// 00000000C8EC: D3F300A0 1E8209B4
	ds_read_b128 a[72:75], v2                                  // 00000000C8F4: DBFE0000 48000002
	ds_read_b128 a[76:79], v2 offset:64                        // 00000000C8FC: DBFE0040 4C000002
	v_mfma_f32_16x16x32_fp8_fp8 v[160:163], a[182:183], a[6:7], v[160:163]// 00000000C904: D3F300A0 1E820DB6
	v_mfma_f32_16x16x32_fp8_fp8 v[196:199], a[184:185], a[0:1], v[196:199]// 00000000C90C: D3F300C4 1F1201B8
	buffer_load_dwordx4 a[164:167], v84, s[84:87], 0 offen offset:1024// 00000000C914: E05C1400 8095A454
	v_mfma_f32_16x16x32_fp8_fp8 v[196:199], a[186:187], a[2:3], v[196:199]// 00000000C91C: D3F300C4 1F1205BA
	v_mfma_f32_16x16x32_fp8_fp8 v[196:199], a[188:189], a[4:5], v[196:199]// 00000000C924: D3F300C4 1F1209BC
	ds_read_b128 a[80:83], v2 offset:512                       // 00000000C92C: DBFE0200 50000002
	ds_read_b128 a[84:87], v2 offset:576                       // 00000000C934: DBFE0240 54000002
	v_mfma_f32_16x16x32_fp8_fp8 v[196:199], a[190:191], a[6:7], v[196:199]// 00000000C93C: D3F300C4 1F120DBE
	v_mfma_f32_16x16x32_fp8_fp8 v[164:167], a[176:177], a[8:9], v[164:167]// 00000000C944: D3F300A4 1E9211B0
	buffer_load_dwordx4 a[168:171], v85, s[84:87], 0 offen     // 00000000C94C: E05C1000 8095A855
	v_mfma_f32_16x16x32_fp8_fp8 v[164:167], a[178:179], a[10:11], v[164:167]// 00000000C954: D3F300A4 1E9215B2
	v_mfma_f32_16x16x32_fp8_fp8 v[164:167], a[180:181], a[12:13], v[164:167]// 00000000C95C: D3F300A4 1E9219B4
	ds_read_b128 a[88:91], v2 offset:1024                      // 00000000C964: DBFE0400 58000002
	ds_read_b128 a[92:95], v2 offset:1088                      // 00000000C96C: DBFE0440 5C000002
	v_mfma_f32_16x16x32_fp8_fp8 v[164:167], a[182:183], a[14:15], v[164:167]// 00000000C974: D3F300A4 1E921DB6
	v_mfma_f32_16x16x32_fp8_fp8 v[200:203], a[184:185], a[8:9], v[200:203]// 00000000C97C: D3F300C8 1F2211B8
	buffer_load_dwordx4 a[172:175], v85, s[84:87], 0 offen offset:1024// 00000000C984: E05C1400 8095AC55
	v_mfma_f32_16x16x32_fp8_fp8 v[200:203], a[186:187], a[10:11], v[200:203]// 00000000C98C: D3F300C8 1F2215BA
	v_mfma_f32_16x16x32_fp8_fp8 v[200:203], a[188:189], a[12:13], v[200:203]// 00000000C994: D3F300C8 1F2219BC
	ds_read_b128 a[96:99], v2 offset:1536                      // 00000000C99C: DBFE0600 60000002
	ds_read_b128 a[100:103], v2 offset:1600                    // 00000000C9A4: DBFE0640 64000002
	v_mfma_f32_16x16x32_fp8_fp8 v[200:203], a[190:191], a[14:15], v[200:203]// 00000000C9AC: D3F300C8 1F221DBE
	v_mfma_f32_16x16x32_fp8_fp8 v[168:171], a[176:177], a[16:17], v[168:171]// 00000000C9B4: D3F300A8 1EA221B0
	v_mfma_f32_16x16x32_fp8_fp8 v[168:171], a[178:179], a[18:19], v[168:171]// 00000000C9BC: D3F300A8 1EA225B2
	v_mfma_f32_16x16x32_fp8_fp8 v[168:171], a[180:181], a[20:21], v[168:171]// 00000000C9C4: D3F300A8 1EA229B4
	ds_read_b128 a[104:107], v2 offset:2048                    // 00000000C9CC: DBFE0800 68000002
	ds_read_b128 a[108:111], v2 offset:2112                    // 00000000C9D4: DBFE0840 6C000002
	v_mfma_f32_16x16x32_fp8_fp8 v[168:171], a[182:183], a[22:23], v[168:171]// 00000000C9DC: D3F300A8 1EA22DB6
	v_mfma_f32_16x16x32_fp8_fp8 v[204:207], a[184:185], a[16:17], v[204:207]// 00000000C9E4: D3F300CC 1F3221B8
	v_mfma_f32_16x16x32_fp8_fp8 v[204:207], a[186:187], a[18:19], v[204:207]// 00000000C9EC: D3F300CC 1F3225BA
	v_mfma_f32_16x16x32_fp8_fp8 v[204:207], a[188:189], a[20:21], v[204:207]// 00000000C9F4: D3F300CC 1F3229BC
	ds_read_b128 a[112:115], v2 offset:2560                    // 00000000C9FC: DBFE0A00 70000002
	ds_read_b128 a[116:119], v2 offset:2624                    // 00000000CA04: DBFE0A40 74000002
	v_mfma_f32_16x16x32_fp8_fp8 v[204:207], a[190:191], a[22:23], v[204:207]// 00000000CA0C: D3F300CC 1F322DBE
	v_mfma_f32_16x16x32_fp8_fp8 v[172:175], a[176:177], a[24:25], v[172:175]// 00000000CA14: D3F300AC 1EB231B0
	v_mfma_f32_16x16x32_fp8_fp8 v[172:175], a[178:179], a[26:27], v[172:175]// 00000000CA1C: D3F300AC 1EB235B2
	v_mfma_f32_16x16x32_fp8_fp8 v[172:175], a[180:181], a[28:29], v[172:175]// 00000000CA24: D3F300AC 1EB239B4
	ds_read_b128 a[120:123], v2 offset:3072                    // 00000000CA2C: DBFE0C00 78000002
	ds_read_b128 a[124:127], v2 offset:3136                    // 00000000CA34: DBFE0C40 7C000002
	v_mfma_f32_16x16x32_fp8_fp8 v[172:175], a[182:183], a[30:31], v[172:175]// 00000000CA3C: D3F300AC 1EB23DB6
	v_mfma_f32_16x16x32_fp8_fp8 v[208:211], a[184:185], a[24:25], v[208:211]// 00000000CA44: D3F300D0 1F4231B8
	v_mfma_f32_16x16x32_fp8_fp8 v[208:211], a[186:187], a[26:27], v[208:211]// 00000000CA4C: D3F300D0 1F4235BA
	v_mfma_f32_16x16x32_fp8_fp8 v[208:211], a[188:189], a[28:29], v[208:211]// 00000000CA54: D3F300D0 1F4239BC
	ds_read_b128 a[128:131], v2 offset:3584                    // 00000000CA5C: DBFE0E00 80000002
	ds_read_b128 a[132:135], v2 offset:3648                    // 00000000CA64: DBFE0E40 84000002
	v_mfma_f32_16x16x32_fp8_fp8 v[208:211], a[190:191], a[30:31], v[208:211]// 00000000CA6C: D3F300D0 1F423DBE
	v_mfma_f32_16x16x32_fp8_fp8 v[176:179], a[176:177], a[32:33], v[176:179]// 00000000CA74: D3F300B0 1EC241B0
	v_mfma_f32_16x16x32_fp8_fp8 v[176:179], a[178:179], a[34:35], v[176:179]// 00000000CA7C: D3F300B0 1EC245B2
	v_mfma_f32_16x16x32_fp8_fp8 v[176:179], a[180:181], a[36:37], v[176:179]// 00000000CA84: D3F300B0 1EC249B4
	ds_read_b128 a[136:139], v2 offset:4096                    // 00000000CA8C: DBFE1000 88000002
	ds_read_b128 a[140:143], v2 offset:4160                    // 00000000CA94: DBFE1040 8C000002
	v_mfma_f32_16x16x32_fp8_fp8 v[176:179], a[182:183], a[38:39], v[176:179]// 00000000CA9C: D3F300B0 1EC24DB6
	v_mfma_f32_16x16x32_fp8_fp8 v[212:215], a[184:185], a[32:33], v[212:215]// 00000000CAA4: D3F300D4 1F5241B8
	v_mfma_f32_16x16x32_fp8_fp8 v[212:215], a[186:187], a[34:35], v[212:215]// 00000000CAAC: D3F300D4 1F5245BA
	v_mfma_f32_16x16x32_fp8_fp8 v[212:215], a[188:189], a[36:37], v[212:215]// 00000000CAB4: D3F300D4 1F5249BC
	v_mfma_f32_16x16x32_fp8_fp8 v[212:215], a[190:191], a[38:39], v[212:215]// 00000000CABC: D3F300D4 1F524DBE
	v_mfma_f32_16x16x32_fp8_fp8 v[180:183], a[176:177], a[40:41], v[180:183]// 00000000CAC4: D3F300B4 1ED251B0
	v_mfma_f32_16x16x32_fp8_fp8 v[180:183], a[178:179], a[42:43], v[180:183]// 00000000CACC: D3F300B4 1ED255B2
	v_mfma_f32_16x16x32_fp8_fp8 v[180:183], a[180:181], a[44:45], v[180:183]// 00000000CAD4: D3F300B4 1ED259B4
	v_mfma_f32_16x16x32_fp8_fp8 v[180:183], a[182:183], a[46:47], v[180:183]// 00000000CADC: D3F300B4 1ED25DB6
	v_mfma_f32_16x16x32_fp8_fp8 v[216:219], a[184:185], a[40:41], v[216:219]// 00000000CAE4: D3F300D8 1F6251B8
	v_mfma_f32_16x16x32_fp8_fp8 v[216:219], a[186:187], a[42:43], v[216:219]// 00000000CAEC: D3F300D8 1F6255BA
	v_mfma_f32_16x16x32_fp8_fp8 v[216:219], a[188:189], a[44:45], v[216:219]// 00000000CAF4: D3F300D8 1F6259BC
	v_mfma_f32_16x16x32_fp8_fp8 v[216:219], a[190:191], a[46:47], v[216:219]// 00000000CAFC: D3F300D8 1F625DBE
	v_mfma_f32_16x16x32_fp8_fp8 v[184:187], a[176:177], a[48:49], v[184:187]// 00000000CB04: D3F300B8 1EE261B0
	v_mfma_f32_16x16x32_fp8_fp8 v[184:187], a[178:179], a[50:51], v[184:187]// 00000000CB0C: D3F300B8 1EE265B2
	v_mfma_f32_16x16x32_fp8_fp8 v[184:187], a[180:181], a[52:53], v[184:187]// 00000000CB14: D3F300B8 1EE269B4
	v_mfma_f32_16x16x32_fp8_fp8 v[184:187], a[182:183], a[54:55], v[184:187]// 00000000CB1C: D3F300B8 1EE26DB6
	v_mfma_f32_16x16x32_fp8_fp8 v[220:223], a[184:185], a[48:49], v[220:223]// 00000000CB24: D3F300DC 1F7261B8
	v_mfma_f32_16x16x32_fp8_fp8 v[220:223], a[186:187], a[50:51], v[220:223]// 00000000CB2C: D3F300DC 1F7265BA
	v_mfma_f32_16x16x32_fp8_fp8 v[220:223], a[188:189], a[52:53], v[220:223]// 00000000CB34: D3F300DC 1F7269BC
	v_mfma_f32_16x16x32_fp8_fp8 v[220:223], a[190:191], a[54:55], v[220:223]// 00000000CB3C: D3F300DC 1F726DBE
	v_mfma_f32_16x16x32_fp8_fp8 v[188:191], a[176:177], a[56:57], v[188:191]// 00000000CB44: D3F300BC 1EF271B0
	v_mfma_f32_16x16x32_fp8_fp8 v[188:191], a[178:179], a[58:59], v[188:191]// 00000000CB4C: D3F300BC 1EF275B2
	v_mfma_f32_16x16x32_fp8_fp8 v[188:191], a[180:181], a[60:61], v[188:191]// 00000000CB54: D3F300BC 1EF279B4
	v_mfma_f32_16x16x32_fp8_fp8 v[188:191], a[182:183], a[62:63], v[188:191]// 00000000CB5C: D3F300BC 1EF27DB6
	v_mfma_f32_16x16x32_fp8_fp8 v[224:227], a[184:185], a[56:57], v[224:227]// 00000000CB64: D3F300E0 1F8271B8
	v_mfma_f32_16x16x32_fp8_fp8 v[224:227], a[186:187], a[58:59], v[224:227]// 00000000CB6C: D3F300E0 1F8275BA
	v_mfma_f32_16x16x32_fp8_fp8 v[224:227], a[188:189], a[60:61], v[224:227]// 00000000CB74: D3F300E0 1F8279BC
	v_mfma_f32_16x16x32_fp8_fp8 v[224:227], a[190:191], a[62:63], v[224:227]// 00000000CB7C: D3F300E0 1F827DBE
	v_mfma_f32_16x16x32_fp8_fp8 v[192:195], a[176:177], a[64:65], v[192:195]// 00000000CB84: D3F300C0 1F0281B0
	s_add_u32 s60, 0x180, s80                                  // 00000000CB8C: 803C50FF 00000180
	s_cmp_lt_u32 s60, s81                                      // 00000000CB94: BF0A513C
	s_cselect_b32 s57, s57, 0                                  // 00000000CB98: 85398039
	v_mfma_f32_16x16x32_fp8_fp8 v[192:195], a[178:179], a[66:67], v[192:195]// 00000000CB9C: D3F300C0 1F0285B2
	s_add_u32 s60, 0x100, s80                                  // 00000000CBA4: 803C50FF 00000100
	s_cmp_lt_u32 s60, s81                                      // 00000000CBAC: BF0A513C
	s_cselect_b32 s58, s58, 0                                  // 00000000CBB0: 853A803A
	v_mfma_f32_16x16x32_fp8_fp8 v[192:195], a[180:181], a[68:69], v[192:195]// 00000000CBB4: D3F300C0 1F0289B4
	s_add_u32 s60, 0x100, s80                                  // 00000000CBBC: 803C50FF 00000100
	s_cmp_lt_u32 s60, s81                                      // 00000000CBC4: BF0A513C
	s_cselect_b32 s83, s83, 0                                  // 00000000CBC8: 85538053
	v_mfma_f32_16x16x32_fp8_fp8 v[192:195], a[182:183], a[70:71], v[192:195]// 00000000CBCC: D3F300C0 1F028DB6
	s_add_u32 s24, s58, s24                                    // 00000000CBD4: 8018183A
	s_addc_u32 s25, 0, s25                                     // 00000000CBD8: 82191980
	v_mfma_f32_16x16x32_fp8_fp8 v[228:231], a[184:185], a[64:65], v[228:231]// 00000000CBDC: D3F300E4 1F9281B8
	s_add_u32 s20, s57, s20                                    // 00000000CBE4: 80141439
	s_addc_u32 s21, 0, s21                                     // 00000000CBE8: 82151580
	v_mfma_f32_16x16x32_fp8_fp8 v[228:231], a[186:187], a[66:67], v[228:231]// 00000000CBEC: D3F300E4 1F9285BA
	s_add_u32 s84, s83, s84                                    // 00000000CBF4: 80545453
	s_addc_u32 s85, 0, s85                                     // 00000000CBF8: 82555580
	v_mfma_f32_16x16x32_fp8_fp8 v[228:231], a[188:189], a[68:69], v[228:231]// 00000000CBFC: D3F300E4 1F9289BC
	v_mfma_f32_16x16x32_fp8_fp8 v[228:231], a[190:191], a[70:71], v[228:231]// 00000000CC04: D3F300E4 1F928DBE
	s_addk_i32 s80, 0x80                                       // 00000000CC0C: B7500080
	s_cmp_lt_i32 s80, s81                                      // 00000000CC10: BF045150
	s_cbranch_scc0 label_2DA3                                  // 00000000CC14: BF84051A
	s_waitcnt vmcnt(22) lgkmcnt(0)                             // 00000000CC18: BF8C4076
	v_mfma_f32_16x16x32_fp8_fp8 v[88:91], a[144:145], a[72:73], v[88:91]// 00000000CC1C: D3F30058 1D629190
	buffer_load_dwordx4 a[176:179], v84, s[24:27], 0 offen     // 00000000CC24: E05C1000 8086B054
	v_mfma_f32_16x16x32_fp8_fp8 v[88:91], a[146:147], a[74:75], v[88:91]// 00000000CC2C: D3F30058 1D629592
	v_mfma_f32_16x16x32_fp8_fp8 v[88:91], a[148:149], a[76:77], v[88:91]// 00000000CC34: D3F30058 1D629994
	v_mfma_f32_16x16x32_fp8_fp8 v[88:91], a[150:151], a[78:79], v[88:91]// 00000000CC3C: D3F30058 1D629D96
	v_mfma_f32_16x16x32_fp8_fp8 v[124:127], a[152:153], a[72:73], v[124:127]// 00000000CC44: D3F3007C 1DF29198
	buffer_load_dwordx4 a[180:183], v84, s[24:27], 0 offen offset:1024// 00000000CC4C: E05C1400 8086B454
	v_mfma_f32_16x16x32_fp8_fp8 v[124:127], a[154:155], a[74:75], v[124:127]// 00000000CC54: D3F3007C 1DF2959A
	v_mfma_f32_16x16x32_fp8_fp8 v[124:127], a[156:157], a[76:77], v[124:127]// 00000000CC5C: D3F3007C 1DF2999C
	v_mfma_f32_16x16x32_fp8_fp8 v[124:127], a[158:159], a[78:79], v[124:127]// 00000000CC64: D3F3007C 1DF29D9E
	v_mfma_f32_16x16x32_fp8_fp8 v[92:95], a[144:145], a[80:81], v[92:95]// 00000000CC6C: D3F3005C 1D72A190
	buffer_load_dwordx4 a[184:187], v85, s[24:27], 0 offen     // 00000000CC74: E05C1000 8086B855
	v_mfma_f32_16x16x32_fp8_fp8 v[92:95], a[146:147], a[82:83], v[92:95]// 00000000CC7C: D3F3005C 1D72A592
	v_mfma_f32_16x16x32_fp8_fp8 v[92:95], a[148:149], a[84:85], v[92:95]// 00000000CC84: D3F3005C 1D72A994
	v_mfma_f32_16x16x32_fp8_fp8 v[92:95], a[150:151], a[86:87], v[92:95]// 00000000CC8C: D3F3005C 1D72AD96
	v_mfma_f32_16x16x32_fp8_fp8 v[128:131], a[152:153], a[80:81], v[128:131]// 00000000CC94: D3F30080 1E02A198
	buffer_load_dwordx4 a[188:191], v85, s[24:27], 0 offen offset:1024// 00000000CC9C: E05C1400 8086BC55
	buffer_load_dword v66, s[20:23], 0 offen lds               // 00000000CCA4: E0511000 80050042
	s_add_u32 m0, 0x100, s50                                   // 00000000CCAC: 807C32FF 00000100
	v_mfma_f32_16x16x32_fp8_fp8 v[128:131], a[154:155], a[82:83], v[128:131]// 00000000CCB4: D3F30080 1E02A59A
	v_mfma_f32_16x16x32_fp8_fp8 v[128:131], a[156:157], a[84:85], v[128:131]// 00000000CCBC: D3F30080 1E02A99C
	buffer_load_dword v67, s[20:23], 0 offen lds               // 00000000CCC4: E0511000 80050043
	s_add_u32 m0, 0x200, s50                                   // 00000000CCCC: 807C32FF 00000200
	v_mfma_f32_16x16x32_fp8_fp8 v[128:131], a[158:159], a[86:87], v[128:131]// 00000000CCD4: D3F30080 1E02AD9E
	v_mfma_f32_16x16x32_fp8_fp8 v[96:99], a[144:145], a[88:89], v[96:99]// 00000000CCDC: D3F30060 1D82B190
	buffer_load_dword v68, s[20:23], 0 offen lds               // 00000000CCE4: E0511000 80050044
	s_add_u32 m0, 0x300, s50                                   // 00000000CCEC: 807C32FF 00000300
	v_mfma_f32_16x16x32_fp8_fp8 v[96:99], a[146:147], a[90:91], v[96:99]// 00000000CCF4: D3F30060 1D82B592
	v_mfma_f32_16x16x32_fp8_fp8 v[96:99], a[148:149], a[92:93], v[96:99]// 00000000CCFC: D3F30060 1D82B994
	buffer_load_dword v69, s[20:23], 0 offen lds               // 00000000CD04: E0511000 80050045
	s_add_u32 m0, 0x400, s50                                   // 00000000CD0C: 807C32FF 00000400
	v_mfma_f32_16x16x32_fp8_fp8 v[96:99], a[150:151], a[94:95], v[96:99]// 00000000CD14: D3F30060 1D82BD96
	v_mfma_f32_16x16x32_fp8_fp8 v[132:135], a[152:153], a[88:89], v[132:135]// 00000000CD1C: D3F30084 1E12B198
	buffer_load_dword v70, s[20:23], 0 offen lds               // 00000000CD24: E0511000 80050046
	s_add_u32 m0, 0x500, s50                                   // 00000000CD2C: 807C32FF 00000500
	v_mfma_f32_16x16x32_fp8_fp8 v[132:135], a[154:155], a[90:91], v[132:135]// 00000000CD34: D3F30084 1E12B59A
	v_mfma_f32_16x16x32_fp8_fp8 v[132:135], a[156:157], a[92:93], v[132:135]// 00000000CD3C: D3F30084 1E12B99C
	buffer_load_dword v71, s[20:23], 0 offen lds               // 00000000CD44: E0511000 80050047
	s_add_u32 m0, 0x600, s50                                   // 00000000CD4C: 807C32FF 00000600
	v_mfma_f32_16x16x32_fp8_fp8 v[132:135], a[158:159], a[94:95], v[132:135]// 00000000CD54: D3F30084 1E12BD9E
	v_mfma_f32_16x16x32_fp8_fp8 v[100:103], a[144:145], a[96:97], v[100:103]// 00000000CD5C: D3F30064 1D92C190
	buffer_load_dword v72, s[20:23], 0 offen lds               // 00000000CD64: E0511000 80050048
	s_add_u32 m0, 0x700, s50                                   // 00000000CD6C: 807C32FF 00000700
	v_mfma_f32_16x16x32_fp8_fp8 v[100:103], a[146:147], a[98:99], v[100:103]// 00000000CD74: D3F30064 1D92C592
	v_mfma_f32_16x16x32_fp8_fp8 v[100:103], a[148:149], a[100:101], v[100:103]// 00000000CD7C: D3F30064 1D92C994
	buffer_load_dword v73, s[20:23], 0 offen lds               // 00000000CD84: E0511000 80050049
	s_add_u32 m0, 0x800, s50                                   // 00000000CD8C: 807C32FF 00000800
	v_mfma_f32_16x16x32_fp8_fp8 v[100:103], a[150:151], a[102:103], v[100:103]// 00000000CD94: D3F30064 1D92CD96
	v_mfma_f32_16x16x32_fp8_fp8 v[136:139], a[152:153], a[96:97], v[136:139]// 00000000CD9C: D3F30088 1E22C198
	buffer_load_dword v74, s[20:23], 0 offen lds               // 00000000CDA4: E0511000 8005004A
	s_add_u32 m0, 0x900, s50                                   // 00000000CDAC: 807C32FF 00000900
	v_mfma_f32_16x16x32_fp8_fp8 v[136:139], a[154:155], a[98:99], v[136:139]// 00000000CDB4: D3F30088 1E22C59A
	v_mfma_f32_16x16x32_fp8_fp8 v[136:139], a[156:157], a[100:101], v[136:139]// 00000000CDBC: D3F30088 1E22C99C
	buffer_load_dword v75, s[20:23], 0 offen lds               // 00000000CDC4: E0511000 8005004B
	s_add_u32 m0, 0xa00, s50                                   // 00000000CDCC: 807C32FF 00000A00
	v_mfma_f32_16x16x32_fp8_fp8 v[136:139], a[158:159], a[102:103], v[136:139]// 00000000CDD4: D3F30088 1E22CD9E
	v_mfma_f32_16x16x32_fp8_fp8 v[104:107], a[144:145], a[104:105], v[104:107]// 00000000CDDC: D3F30068 1DA2D190
	buffer_load_dword v76, s[20:23], 0 offen lds               // 00000000CDE4: E0511000 8005004C
	s_add_u32 m0, 0xb00, s50                                   // 00000000CDEC: 807C32FF 00000B00
	v_mfma_f32_16x16x32_fp8_fp8 v[104:107], a[146:147], a[106:107], v[104:107]// 00000000CDF4: D3F30068 1DA2D592
	v_mfma_f32_16x16x32_fp8_fp8 v[104:107], a[148:149], a[108:109], v[104:107]// 00000000CDFC: D3F30068 1DA2D994
	buffer_load_dword v77, s[20:23], 0 offen lds               // 00000000CE04: E0511000 8005004D
	s_add_u32 m0, 0xc00, s50                                   // 00000000CE0C: 807C32FF 00000C00
	v_mfma_f32_16x16x32_fp8_fp8 v[104:107], a[150:151], a[110:111], v[104:107]// 00000000CE14: D3F30068 1DA2DD96
	v_mfma_f32_16x16x32_fp8_fp8 v[140:143], a[152:153], a[104:105], v[140:143]// 00000000CE1C: D3F3008C 1E32D198
	buffer_load_dword v78, s[20:23], 0 offen lds               // 00000000CE24: E0511000 8005004E
	s_add_u32 m0, 0xd00, s50                                   // 00000000CE2C: 807C32FF 00000D00
	v_mfma_f32_16x16x32_fp8_fp8 v[140:143], a[154:155], a[106:107], v[140:143]// 00000000CE34: D3F3008C 1E32D59A
	v_mfma_f32_16x16x32_fp8_fp8 v[140:143], a[156:157], a[108:109], v[140:143]// 00000000CE3C: D3F3008C 1E32D99C
	buffer_load_dword v79, s[20:23], 0 offen lds               // 00000000CE44: E0511000 8005004F
	s_add_u32 m0, 0xe00, s50                                   // 00000000CE4C: 807C32FF 00000E00
	v_mfma_f32_16x16x32_fp8_fp8 v[140:143], a[158:159], a[110:111], v[140:143]// 00000000CE54: D3F3008C 1E32DD9E
	v_mfma_f32_16x16x32_fp8_fp8 v[108:111], a[144:145], a[112:113], v[108:111]// 00000000CE5C: D3F3006C 1DB2E190
	buffer_load_dword v80, s[20:23], 0 offen lds               // 00000000CE64: E0511000 80050050
	s_add_u32 m0, 0xf00, s50                                   // 00000000CE6C: 807C32FF 00000F00
	v_mfma_f32_16x16x32_fp8_fp8 v[108:111], a[146:147], a[114:115], v[108:111]// 00000000CE74: D3F3006C 1DB2E592
	v_mfma_f32_16x16x32_fp8_fp8 v[108:111], a[148:149], a[116:117], v[108:111]// 00000000CE7C: D3F3006C 1DB2E994
	buffer_load_dword v81, s[20:23], 0 offen lds               // 00000000CE84: E0511000 80050051
	s_add_u32 m0, 0x1000, s50                                  // 00000000CE8C: 807C32FF 00001000
	v_mfma_f32_16x16x32_fp8_fp8 v[108:111], a[150:151], a[118:119], v[108:111]// 00000000CE94: D3F3006C 1DB2ED96
	v_mfma_f32_16x16x32_fp8_fp8 v[144:147], a[152:153], a[112:113], v[144:147]// 00000000CE9C: D3F30090 1E42E198
	buffer_load_dword v82, s[20:23], 0 offen lds               // 00000000CEA4: E0511000 80050052
	s_add_u32 m0, 0x1100, s50                                  // 00000000CEAC: 807C32FF 00001100
	v_mfma_f32_16x16x32_fp8_fp8 v[144:147], a[154:155], a[114:115], v[144:147]// 00000000CEB4: D3F30090 1E42E59A
	v_mfma_f32_16x16x32_fp8_fp8 v[144:147], a[156:157], a[116:117], v[144:147]// 00000000CEBC: D3F30090 1E42E99C
	buffer_load_dword v83, s[20:23], 0 offen lds               // 00000000CEC4: E0511000 80050053
	s_add_u32 m0, 0, s48                                       // 00000000CECC: 807C3080
	v_mfma_f32_16x16x32_fp8_fp8 v[144:147], a[158:159], a[118:119], v[144:147]// 00000000CED0: D3F30090 1E42ED9E
	v_mfma_f32_16x16x32_fp8_fp8 v[112:115], a[144:145], a[120:121], v[112:115]// 00000000CED8: D3F30070 1DC2F190
	v_mfma_f32_16x16x32_fp8_fp8 v[112:115], a[146:147], a[122:123], v[112:115]// 00000000CEE0: D3F30070 1DC2F592
	v_mfma_f32_16x16x32_fp8_fp8 v[112:115], a[148:149], a[124:125], v[112:115]// 00000000CEE8: D3F30070 1DC2F994
	v_mfma_f32_16x16x32_fp8_fp8 v[112:115], a[150:151], a[126:127], v[112:115]// 00000000CEF0: D3F30070 1DC2FD96
	v_mfma_f32_16x16x32_fp8_fp8 v[148:151], a[152:153], a[120:121], v[148:151]// 00000000CEF8: D3F30094 1E52F198
	v_mfma_f32_16x16x32_fp8_fp8 v[148:151], a[154:155], a[122:123], v[148:151]// 00000000CF00: D3F30094 1E52F59A
	v_mfma_f32_16x16x32_fp8_fp8 v[148:151], a[156:157], a[124:125], v[148:151]// 00000000CF08: D3F30094 1E52F99C
	v_mfma_f32_16x16x32_fp8_fp8 v[148:151], a[158:159], a[126:127], v[148:151]// 00000000CF10: D3F30094 1E52FD9E
	v_mfma_f32_16x16x32_fp8_fp8 v[116:119], a[144:145], a[128:129], v[116:119]// 00000000CF18: D3F30074 1DD30190
	v_mfma_f32_16x16x32_fp8_fp8 v[116:119], a[146:147], a[130:131], v[116:119]// 00000000CF20: D3F30074 1DD30592
	v_mfma_f32_16x16x32_fp8_fp8 v[116:119], a[148:149], a[132:133], v[116:119]// 00000000CF28: D3F30074 1DD30994
	v_mfma_f32_16x16x32_fp8_fp8 v[116:119], a[150:151], a[134:135], v[116:119]// 00000000CF30: D3F30074 1DD30D96
	v_mfma_f32_16x16x32_fp8_fp8 v[152:155], a[152:153], a[128:129], v[152:155]// 00000000CF38: D3F30098 1E630198
	v_mfma_f32_16x16x32_fp8_fp8 v[152:155], a[154:155], a[130:131], v[152:155]// 00000000CF40: D3F30098 1E63059A
	v_mfma_f32_16x16x32_fp8_fp8 v[152:155], a[156:157], a[132:133], v[152:155]// 00000000CF48: D3F30098 1E63099C
	v_mfma_f32_16x16x32_fp8_fp8 v[152:155], a[158:159], a[134:135], v[152:155]// 00000000CF50: D3F30098 1E630D9E
	v_mfma_f32_16x16x32_fp8_fp8 v[120:123], a[144:145], a[136:137], v[120:123]// 00000000CF58: D3F30078 1DE31190
	v_mfma_f32_16x16x32_fp8_fp8 v[120:123], a[146:147], a[138:139], v[120:123]// 00000000CF60: D3F30078 1DE31592
	v_mfma_f32_16x16x32_fp8_fp8 v[120:123], a[148:149], a[140:141], v[120:123]// 00000000CF68: D3F30078 1DE31994
	v_mfma_f32_16x16x32_fp8_fp8 v[120:123], a[150:151], a[142:143], v[120:123]// 00000000CF70: D3F30078 1DE31D96
	v_mfma_f32_16x16x32_fp8_fp8 v[156:159], a[152:153], a[136:137], v[156:159]// 00000000CF78: D3F3009C 1E731198
	v_mfma_f32_16x16x32_fp8_fp8 v[156:159], a[154:155], a[138:139], v[156:159]// 00000000CF80: D3F3009C 1E73159A
	v_mfma_f32_16x16x32_fp8_fp8 v[156:159], a[156:157], a[140:141], v[156:159]// 00000000CF88: D3F3009C 1E73199C
	v_mfma_f32_16x16x32_fp8_fp8 v[156:159], a[158:159], a[142:143], v[156:159]// 00000000CF90: D3F3009C 1E731D9E
	s_waitcnt vmcnt(22)                                        // 00000000CF98: BF8C4F76
	s_barrier                                                  // 00000000CF9C: BF8A0000
	v_mfma_f32_16x16x32_fp8_fp8 v[160:163], a[160:161], a[72:73], v[160:163]// 00000000CFA0: D3F300A0 1E8291A0
	buffer_load_dwordx4 a[144:147], v84, s[84:87], 0 offen     // 00000000CFA8: E05C1000 80959054
	v_mfma_f32_16x16x32_fp8_fp8 v[160:163], a[162:163], a[74:75], v[160:163]// 00000000CFB0: D3F300A0 1E8295A2
	v_mfma_f32_16x16x32_fp8_fp8 v[160:163], a[164:165], a[76:77], v[160:163]// 00000000CFB8: D3F300A0 1E8299A4
	ds_read_b128 a[0:3], v2 offset:18560                       // 00000000CFC0: DBFE4880 00000002
	ds_read_b128 a[4:7], v2 offset:18624                       // 00000000CFC8: DBFE48C0 04000002
	v_mfma_f32_16x16x32_fp8_fp8 v[160:163], a[166:167], a[78:79], v[160:163]// 00000000CFD0: D3F300A0 1E829DA6
	v_mfma_f32_16x16x32_fp8_fp8 v[196:199], a[168:169], a[72:73], v[196:199]// 00000000CFD8: D3F300C4 1F1291A8
	buffer_load_dwordx4 a[148:151], v84, s[84:87], 0 offen offset:1024// 00000000CFE0: E05C1400 80959454
	v_mfma_f32_16x16x32_fp8_fp8 v[196:199], a[170:171], a[74:75], v[196:199]// 00000000CFE8: D3F300C4 1F1295AA
	v_mfma_f32_16x16x32_fp8_fp8 v[196:199], a[172:173], a[76:77], v[196:199]// 00000000CFF0: D3F300C4 1F1299AC
	ds_read_b128 a[8:11], v2 offset:19072                      // 00000000CFF8: DBFE4A80 08000002
	ds_read_b128 a[12:15], v2 offset:19136                     // 00000000D000: DBFE4AC0 0C000002
	v_mfma_f32_16x16x32_fp8_fp8 v[196:199], a[174:175], a[78:79], v[196:199]// 00000000D008: D3F300C4 1F129DAE
	v_mfma_f32_16x16x32_fp8_fp8 v[164:167], a[160:161], a[80:81], v[164:167]// 00000000D010: D3F300A4 1E92A1A0
	buffer_load_dwordx4 a[152:155], v85, s[84:87], 0 offen     // 00000000D018: E05C1000 80959855
	v_mfma_f32_16x16x32_fp8_fp8 v[164:167], a[162:163], a[82:83], v[164:167]// 00000000D020: D3F300A4 1E92A5A2
	v_mfma_f32_16x16x32_fp8_fp8 v[164:167], a[164:165], a[84:85], v[164:167]// 00000000D028: D3F300A4 1E92A9A4
	ds_read_b128 a[16:19], v2 offset:19584                     // 00000000D030: DBFE4C80 10000002
	ds_read_b128 a[20:23], v2 offset:19648                     // 00000000D038: DBFE4CC0 14000002
	v_mfma_f32_16x16x32_fp8_fp8 v[164:167], a[166:167], a[86:87], v[164:167]// 00000000D040: D3F300A4 1E92ADA6
	v_mfma_f32_16x16x32_fp8_fp8 v[200:203], a[168:169], a[80:81], v[200:203]// 00000000D048: D3F300C8 1F22A1A8
	buffer_load_dwordx4 a[156:159], v85, s[84:87], 0 offen offset:1024// 00000000D050: E05C1400 80959C55
	v_mfma_f32_16x16x32_fp8_fp8 v[200:203], a[170:171], a[82:83], v[200:203]// 00000000D058: D3F300C8 1F22A5AA
	v_mfma_f32_16x16x32_fp8_fp8 v[200:203], a[172:173], a[84:85], v[200:203]// 00000000D060: D3F300C8 1F22A9AC
	ds_read_b128 a[24:27], v2 offset:20096                     // 00000000D068: DBFE4E80 18000002
	ds_read_b128 a[28:31], v2 offset:20160                     // 00000000D070: DBFE4EC0 1C000002
	v_mfma_f32_16x16x32_fp8_fp8 v[200:203], a[174:175], a[86:87], v[200:203]// 00000000D078: D3F300C8 1F22ADAE
	v_mfma_f32_16x16x32_fp8_fp8 v[168:171], a[160:161], a[88:89], v[168:171]// 00000000D080: D3F300A8 1EA2B1A0
	v_mfma_f32_16x16x32_fp8_fp8 v[168:171], a[162:163], a[90:91], v[168:171]// 00000000D088: D3F300A8 1EA2B5A2
	v_mfma_f32_16x16x32_fp8_fp8 v[168:171], a[164:165], a[92:93], v[168:171]// 00000000D090: D3F300A8 1EA2B9A4
	ds_read_b128 a[32:35], v2 offset:20608                     // 00000000D098: DBFE5080 20000002
	ds_read_b128 a[36:39], v2 offset:20672                     // 00000000D0A0: DBFE50C0 24000002
	v_mfma_f32_16x16x32_fp8_fp8 v[168:171], a[166:167], a[94:95], v[168:171]// 00000000D0A8: D3F300A8 1EA2BDA6
	v_mfma_f32_16x16x32_fp8_fp8 v[204:207], a[168:169], a[88:89], v[204:207]// 00000000D0B0: D3F300CC 1F32B1A8
	v_mfma_f32_16x16x32_fp8_fp8 v[204:207], a[170:171], a[90:91], v[204:207]// 00000000D0B8: D3F300CC 1F32B5AA
	v_mfma_f32_16x16x32_fp8_fp8 v[204:207], a[172:173], a[92:93], v[204:207]// 00000000D0C0: D3F300CC 1F32B9AC
	ds_read_b128 a[40:43], v2 offset:21120                     // 00000000D0C8: DBFE5280 28000002
	ds_read_b128 a[44:47], v2 offset:21184                     // 00000000D0D0: DBFE52C0 2C000002
	v_mfma_f32_16x16x32_fp8_fp8 v[204:207], a[174:175], a[94:95], v[204:207]// 00000000D0D8: D3F300CC 1F32BDAE
	v_mfma_f32_16x16x32_fp8_fp8 v[172:175], a[160:161], a[96:97], v[172:175]// 00000000D0E0: D3F300AC 1EB2C1A0
	v_mfma_f32_16x16x32_fp8_fp8 v[172:175], a[162:163], a[98:99], v[172:175]// 00000000D0E8: D3F300AC 1EB2C5A2
	v_mfma_f32_16x16x32_fp8_fp8 v[172:175], a[164:165], a[100:101], v[172:175]// 00000000D0F0: D3F300AC 1EB2C9A4
	ds_read_b128 a[48:51], v2 offset:21632                     // 00000000D0F8: DBFE5480 30000002
	ds_read_b128 a[52:55], v2 offset:21696                     // 00000000D100: DBFE54C0 34000002
	v_mfma_f32_16x16x32_fp8_fp8 v[172:175], a[166:167], a[102:103], v[172:175]// 00000000D108: D3F300AC 1EB2CDA6
	v_mfma_f32_16x16x32_fp8_fp8 v[208:211], a[168:169], a[96:97], v[208:211]// 00000000D110: D3F300D0 1F42C1A8
	v_mfma_f32_16x16x32_fp8_fp8 v[208:211], a[170:171], a[98:99], v[208:211]// 00000000D118: D3F300D0 1F42C5AA
	v_mfma_f32_16x16x32_fp8_fp8 v[208:211], a[172:173], a[100:101], v[208:211]// 00000000D120: D3F300D0 1F42C9AC
	ds_read_b128 a[56:59], v2 offset:22144                     // 00000000D128: DBFE5680 38000002
	ds_read_b128 a[60:63], v2 offset:22208                     // 00000000D130: DBFE56C0 3C000002
	v_mfma_f32_16x16x32_fp8_fp8 v[208:211], a[174:175], a[102:103], v[208:211]// 00000000D138: D3F300D0 1F42CDAE
	v_mfma_f32_16x16x32_fp8_fp8 v[176:179], a[160:161], a[104:105], v[176:179]// 00000000D140: D3F300B0 1EC2D1A0
	v_mfma_f32_16x16x32_fp8_fp8 v[176:179], a[162:163], a[106:107], v[176:179]// 00000000D148: D3F300B0 1EC2D5A2
	v_mfma_f32_16x16x32_fp8_fp8 v[176:179], a[164:165], a[108:109], v[176:179]// 00000000D150: D3F300B0 1EC2D9A4
	ds_read_b128 a[64:67], v2 offset:22656                     // 00000000D158: DBFE5880 40000002
	ds_read_b128 a[68:71], v2 offset:22720                     // 00000000D160: DBFE58C0 44000002
	v_mfma_f32_16x16x32_fp8_fp8 v[176:179], a[166:167], a[110:111], v[176:179]// 00000000D168: D3F300B0 1EC2DDA6
	v_mfma_f32_16x16x32_fp8_fp8 v[212:215], a[168:169], a[104:105], v[212:215]// 00000000D170: D3F300D4 1F52D1A8
	v_mfma_f32_16x16x32_fp8_fp8 v[212:215], a[170:171], a[106:107], v[212:215]// 00000000D178: D3F300D4 1F52D5AA
	v_mfma_f32_16x16x32_fp8_fp8 v[212:215], a[172:173], a[108:109], v[212:215]// 00000000D180: D3F300D4 1F52D9AC
	v_mfma_f32_16x16x32_fp8_fp8 v[212:215], a[174:175], a[110:111], v[212:215]// 00000000D188: D3F300D4 1F52DDAE
	v_mfma_f32_16x16x32_fp8_fp8 v[180:183], a[160:161], a[112:113], v[180:183]// 00000000D190: D3F300B4 1ED2E1A0
	v_mfma_f32_16x16x32_fp8_fp8 v[180:183], a[162:163], a[114:115], v[180:183]// 00000000D198: D3F300B4 1ED2E5A2
	v_mfma_f32_16x16x32_fp8_fp8 v[180:183], a[164:165], a[116:117], v[180:183]// 00000000D1A0: D3F300B4 1ED2E9A4
	v_mfma_f32_16x16x32_fp8_fp8 v[180:183], a[166:167], a[118:119], v[180:183]// 00000000D1A8: D3F300B4 1ED2EDA6
	v_mfma_f32_16x16x32_fp8_fp8 v[216:219], a[168:169], a[112:113], v[216:219]// 00000000D1B0: D3F300D8 1F62E1A8
	v_mfma_f32_16x16x32_fp8_fp8 v[216:219], a[170:171], a[114:115], v[216:219]// 00000000D1B8: D3F300D8 1F62E5AA
	v_mfma_f32_16x16x32_fp8_fp8 v[216:219], a[172:173], a[116:117], v[216:219]// 00000000D1C0: D3F300D8 1F62E9AC
	v_mfma_f32_16x16x32_fp8_fp8 v[216:219], a[174:175], a[118:119], v[216:219]// 00000000D1C8: D3F300D8 1F62EDAE
	v_mfma_f32_16x16x32_fp8_fp8 v[184:187], a[160:161], a[120:121], v[184:187]// 00000000D1D0: D3F300B8 1EE2F1A0
	v_mfma_f32_16x16x32_fp8_fp8 v[184:187], a[162:163], a[122:123], v[184:187]// 00000000D1D8: D3F300B8 1EE2F5A2
	v_mfma_f32_16x16x32_fp8_fp8 v[184:187], a[164:165], a[124:125], v[184:187]// 00000000D1E0: D3F300B8 1EE2F9A4
	v_mfma_f32_16x16x32_fp8_fp8 v[184:187], a[166:167], a[126:127], v[184:187]// 00000000D1E8: D3F300B8 1EE2FDA6
	v_mfma_f32_16x16x32_fp8_fp8 v[220:223], a[168:169], a[120:121], v[220:223]// 00000000D1F0: D3F300DC 1F72F1A8
	v_mfma_f32_16x16x32_fp8_fp8 v[220:223], a[170:171], a[122:123], v[220:223]// 00000000D1F8: D3F300DC 1F72F5AA
	v_mfma_f32_16x16x32_fp8_fp8 v[220:223], a[172:173], a[124:125], v[220:223]// 00000000D200: D3F300DC 1F72F9AC
	v_mfma_f32_16x16x32_fp8_fp8 v[220:223], a[174:175], a[126:127], v[220:223]// 00000000D208: D3F300DC 1F72FDAE
	v_mfma_f32_16x16x32_fp8_fp8 v[188:191], a[160:161], a[128:129], v[188:191]// 00000000D210: D3F300BC 1EF301A0
	v_mfma_f32_16x16x32_fp8_fp8 v[188:191], a[162:163], a[130:131], v[188:191]// 00000000D218: D3F300BC 1EF305A2
	v_mfma_f32_16x16x32_fp8_fp8 v[188:191], a[164:165], a[132:133], v[188:191]// 00000000D220: D3F300BC 1EF309A4
	v_mfma_f32_16x16x32_fp8_fp8 v[188:191], a[166:167], a[134:135], v[188:191]// 00000000D228: D3F300BC 1EF30DA6
	v_mfma_f32_16x16x32_fp8_fp8 v[224:227], a[168:169], a[128:129], v[224:227]// 00000000D230: D3F300E0 1F8301A8
	v_mfma_f32_16x16x32_fp8_fp8 v[224:227], a[170:171], a[130:131], v[224:227]// 00000000D238: D3F300E0 1F8305AA
	v_mfma_f32_16x16x32_fp8_fp8 v[224:227], a[172:173], a[132:133], v[224:227]// 00000000D240: D3F300E0 1F8309AC
	v_mfma_f32_16x16x32_fp8_fp8 v[224:227], a[174:175], a[134:135], v[224:227]// 00000000D248: D3F300E0 1F830DAE
	v_mfma_f32_16x16x32_fp8_fp8 v[192:195], a[160:161], a[136:137], v[192:195]// 00000000D250: D3F300C0 1F0311A0
	s_add_u32 s60, 0x180, s80                                  // 00000000D258: 803C50FF 00000180
	s_cmp_lt_u32 s60, s81                                      // 00000000D260: BF0A513C
	s_cselect_b32 s57, s57, 0                                  // 00000000D264: 85398039
	v_mfma_f32_16x16x32_fp8_fp8 v[192:195], a[162:163], a[138:139], v[192:195]// 00000000D268: D3F300C0 1F0315A2
	s_add_u32 s60, 0x100, s80                                  // 00000000D270: 803C50FF 00000100
	s_cmp_lt_u32 s60, s81                                      // 00000000D278: BF0A513C
	s_cselect_b32 s58, s58, 0                                  // 00000000D27C: 853A803A
	v_mfma_f32_16x16x32_fp8_fp8 v[192:195], a[164:165], a[140:141], v[192:195]// 00000000D280: D3F300C0 1F0319A4
	s_add_u32 s60, 0x100, s80                                  // 00000000D288: 803C50FF 00000100
	s_cmp_lt_u32 s60, s81                                      // 00000000D290: BF0A513C
	s_cselect_b32 s83, s83, 0                                  // 00000000D294: 85538053
	v_mfma_f32_16x16x32_fp8_fp8 v[192:195], a[166:167], a[142:143], v[192:195]// 00000000D298: D3F300C0 1F031DA6
	s_add_u32 s24, s58, s24                                    // 00000000D2A0: 8018183A
	s_addc_u32 s25, 0, s25                                     // 00000000D2A4: 82191980
	v_mfma_f32_16x16x32_fp8_fp8 v[228:231], a[168:169], a[136:137], v[228:231]// 00000000D2A8: D3F300E4 1F9311A8
	s_add_u32 s20, s57, s20                                    // 00000000D2B0: 80141439
	s_addc_u32 s21, 0, s21                                     // 00000000D2B4: 82151580
	v_mfma_f32_16x16x32_fp8_fp8 v[228:231], a[170:171], a[138:139], v[228:231]// 00000000D2B8: D3F300E4 1F9315AA
	s_add_u32 s84, s83, s84                                    // 00000000D2C0: 80545453
	s_addc_u32 s85, 0, s85                                     // 00000000D2C4: 82555580
	v_mfma_f32_16x16x32_fp8_fp8 v[228:231], a[172:173], a[140:141], v[228:231]// 00000000D2C8: D3F300E4 1F9319AC
	v_mfma_f32_16x16x32_fp8_fp8 v[228:231], a[174:175], a[142:143], v[228:231]// 00000000D2D0: D3F300E4 1F931DAE
	s_addk_i32 s80, 0x80                                       // 00000000D2D8: B7500080
	s_cmp_lt_i32 s80, s81                                      // 00000000D2DC: BF045150
	s_cbranch_scc0 label_2DA3                                  // 00000000D2E0: BF840367
	s_waitcnt vmcnt(22) lgkmcnt(0)                             // 00000000D2E4: BF8C4076
	v_mfma_f32_16x16x32_fp8_fp8 v[88:91], a[176:177], a[0:1], v[88:91]// 00000000D2E8: D3F30058 1D6201B0
	buffer_load_dwordx4 a[160:163], v84, s[24:27], 0 offen     // 00000000D2F0: E05C1000 8086A054
	v_mfma_f32_16x16x32_fp8_fp8 v[88:91], a[178:179], a[2:3], v[88:91]// 00000000D2F8: D3F30058 1D6205B2
	v_mfma_f32_16x16x32_fp8_fp8 v[88:91], a[180:181], a[4:5], v[88:91]// 00000000D300: D3F30058 1D6209B4
	v_mfma_f32_16x16x32_fp8_fp8 v[88:91], a[182:183], a[6:7], v[88:91]// 00000000D308: D3F30058 1D620DB6
	v_mfma_f32_16x16x32_fp8_fp8 v[124:127], a[184:185], a[0:1], v[124:127]// 00000000D310: D3F3007C 1DF201B8
	buffer_load_dwordx4 a[164:167], v84, s[24:27], 0 offen offset:1024// 00000000D318: E05C1400 8086A454
	v_mfma_f32_16x16x32_fp8_fp8 v[124:127], a[186:187], a[2:3], v[124:127]// 00000000D320: D3F3007C 1DF205BA
	v_mfma_f32_16x16x32_fp8_fp8 v[124:127], a[188:189], a[4:5], v[124:127]// 00000000D328: D3F3007C 1DF209BC
	v_mfma_f32_16x16x32_fp8_fp8 v[124:127], a[190:191], a[6:7], v[124:127]// 00000000D330: D3F3007C 1DF20DBE
	v_mfma_f32_16x16x32_fp8_fp8 v[92:95], a[176:177], a[8:9], v[92:95]// 00000000D338: D3F3005C 1D7211B0
	buffer_load_dwordx4 a[168:171], v85, s[24:27], 0 offen     // 00000000D340: E05C1000 8086A855
	v_mfma_f32_16x16x32_fp8_fp8 v[92:95], a[178:179], a[10:11], v[92:95]// 00000000D348: D3F3005C 1D7215B2
	v_mfma_f32_16x16x32_fp8_fp8 v[92:95], a[180:181], a[12:13], v[92:95]// 00000000D350: D3F3005C 1D7219B4
	v_mfma_f32_16x16x32_fp8_fp8 v[92:95], a[182:183], a[14:15], v[92:95]// 00000000D358: D3F3005C 1D721DB6
	v_mfma_f32_16x16x32_fp8_fp8 v[128:131], a[184:185], a[8:9], v[128:131]// 00000000D360: D3F30080 1E0211B8
	buffer_load_dwordx4 a[172:175], v85, s[24:27], 0 offen offset:1024// 00000000D368: E05C1400 8086AC55
	buffer_load_dword v66, s[20:23], 0 offen lds               // 00000000D370: E0511000 80050042
	s_add_u32 m0, 0x100, s48                                   // 00000000D378: 807C30FF 00000100
	v_mfma_f32_16x16x32_fp8_fp8 v[128:131], a[186:187], a[10:11], v[128:131]// 00000000D380: D3F30080 1E0215BA
	v_mfma_f32_16x16x32_fp8_fp8 v[128:131], a[188:189], a[12:13], v[128:131]// 00000000D388: D3F30080 1E0219BC
	buffer_load_dword v67, s[20:23], 0 offen lds               // 00000000D390: E0511000 80050043
	s_add_u32 m0, 0x200, s48                                   // 00000000D398: 807C30FF 00000200
	v_mfma_f32_16x16x32_fp8_fp8 v[128:131], a[190:191], a[14:15], v[128:131]// 00000000D3A0: D3F30080 1E021DBE
	v_mfma_f32_16x16x32_fp8_fp8 v[96:99], a[176:177], a[16:17], v[96:99]// 00000000D3A8: D3F30060 1D8221B0
	buffer_load_dword v68, s[20:23], 0 offen lds               // 00000000D3B0: E0511000 80050044
	s_add_u32 m0, 0x300, s48                                   // 00000000D3B8: 807C30FF 00000300
	v_mfma_f32_16x16x32_fp8_fp8 v[96:99], a[178:179], a[18:19], v[96:99]// 00000000D3C0: D3F30060 1D8225B2
	v_mfma_f32_16x16x32_fp8_fp8 v[96:99], a[180:181], a[20:21], v[96:99]// 00000000D3C8: D3F30060 1D8229B4
	buffer_load_dword v69, s[20:23], 0 offen lds               // 00000000D3D0: E0511000 80050045
	s_add_u32 m0, 0x400, s48                                   // 00000000D3D8: 807C30FF 00000400
	v_mfma_f32_16x16x32_fp8_fp8 v[96:99], a[182:183], a[22:23], v[96:99]// 00000000D3E0: D3F30060 1D822DB6
	v_mfma_f32_16x16x32_fp8_fp8 v[132:135], a[184:185], a[16:17], v[132:135]// 00000000D3E8: D3F30084 1E1221B8
	buffer_load_dword v70, s[20:23], 0 offen lds               // 00000000D3F0: E0511000 80050046
	s_add_u32 m0, 0x500, s48                                   // 00000000D3F8: 807C30FF 00000500
	v_mfma_f32_16x16x32_fp8_fp8 v[132:135], a[186:187], a[18:19], v[132:135]// 00000000D400: D3F30084 1E1225BA
	v_mfma_f32_16x16x32_fp8_fp8 v[132:135], a[188:189], a[20:21], v[132:135]// 00000000D408: D3F30084 1E1229BC
	buffer_load_dword v71, s[20:23], 0 offen lds               // 00000000D410: E0511000 80050047
	s_add_u32 m0, 0x600, s48                                   // 00000000D418: 807C30FF 00000600
	v_mfma_f32_16x16x32_fp8_fp8 v[132:135], a[190:191], a[22:23], v[132:135]// 00000000D420: D3F30084 1E122DBE
	v_mfma_f32_16x16x32_fp8_fp8 v[100:103], a[176:177], a[24:25], v[100:103]// 00000000D428: D3F30064 1D9231B0
	buffer_load_dword v72, s[20:23], 0 offen lds               // 00000000D430: E0511000 80050048
	s_add_u32 m0, 0x700, s48                                   // 00000000D438: 807C30FF 00000700
	v_mfma_f32_16x16x32_fp8_fp8 v[100:103], a[178:179], a[26:27], v[100:103]// 00000000D440: D3F30064 1D9235B2
	v_mfma_f32_16x16x32_fp8_fp8 v[100:103], a[180:181], a[28:29], v[100:103]// 00000000D448: D3F30064 1D9239B4
	buffer_load_dword v73, s[20:23], 0 offen lds               // 00000000D450: E0511000 80050049
	s_add_u32 m0, 0x800, s48                                   // 00000000D458: 807C30FF 00000800
	v_mfma_f32_16x16x32_fp8_fp8 v[100:103], a[182:183], a[30:31], v[100:103]// 00000000D460: D3F30064 1D923DB6
	v_mfma_f32_16x16x32_fp8_fp8 v[136:139], a[184:185], a[24:25], v[136:139]// 00000000D468: D3F30088 1E2231B8
	buffer_load_dword v74, s[20:23], 0 offen lds               // 00000000D470: E0511000 8005004A
	s_add_u32 m0, 0x900, s48                                   // 00000000D478: 807C30FF 00000900
	v_mfma_f32_16x16x32_fp8_fp8 v[136:139], a[186:187], a[26:27], v[136:139]// 00000000D480: D3F30088 1E2235BA
	v_mfma_f32_16x16x32_fp8_fp8 v[136:139], a[188:189], a[28:29], v[136:139]// 00000000D488: D3F30088 1E2239BC
	buffer_load_dword v75, s[20:23], 0 offen lds               // 00000000D490: E0511000 8005004B
	s_add_u32 m0, 0xa00, s48                                   // 00000000D498: 807C30FF 00000A00
	v_mfma_f32_16x16x32_fp8_fp8 v[136:139], a[190:191], a[30:31], v[136:139]// 00000000D4A0: D3F30088 1E223DBE
	v_mfma_f32_16x16x32_fp8_fp8 v[104:107], a[176:177], a[32:33], v[104:107]// 00000000D4A8: D3F30068 1DA241B0
	buffer_load_dword v76, s[20:23], 0 offen lds               // 00000000D4B0: E0511000 8005004C
	s_add_u32 m0, 0xb00, s48                                   // 00000000D4B8: 807C30FF 00000B00
	v_mfma_f32_16x16x32_fp8_fp8 v[104:107], a[178:179], a[34:35], v[104:107]// 00000000D4C0: D3F30068 1DA245B2
	v_mfma_f32_16x16x32_fp8_fp8 v[104:107], a[180:181], a[36:37], v[104:107]// 00000000D4C8: D3F30068 1DA249B4
	buffer_load_dword v77, s[20:23], 0 offen lds               // 00000000D4D0: E0511000 8005004D
	s_add_u32 m0, 0xc00, s48                                   // 00000000D4D8: 807C30FF 00000C00
	v_mfma_f32_16x16x32_fp8_fp8 v[104:107], a[182:183], a[38:39], v[104:107]// 00000000D4E0: D3F30068 1DA24DB6
	v_mfma_f32_16x16x32_fp8_fp8 v[140:143], a[184:185], a[32:33], v[140:143]// 00000000D4E8: D3F3008C 1E3241B8
	buffer_load_dword v78, s[20:23], 0 offen lds               // 00000000D4F0: E0511000 8005004E
	s_add_u32 m0, 0xd00, s48                                   // 00000000D4F8: 807C30FF 00000D00
	v_mfma_f32_16x16x32_fp8_fp8 v[140:143], a[186:187], a[34:35], v[140:143]// 00000000D500: D3F3008C 1E3245BA
	v_mfma_f32_16x16x32_fp8_fp8 v[140:143], a[188:189], a[36:37], v[140:143]// 00000000D508: D3F3008C 1E3249BC
	buffer_load_dword v79, s[20:23], 0 offen lds               // 00000000D510: E0511000 8005004F
	s_add_u32 m0, 0xe00, s48                                   // 00000000D518: 807C30FF 00000E00
	v_mfma_f32_16x16x32_fp8_fp8 v[140:143], a[190:191], a[38:39], v[140:143]// 00000000D520: D3F3008C 1E324DBE
	v_mfma_f32_16x16x32_fp8_fp8 v[108:111], a[176:177], a[40:41], v[108:111]// 00000000D528: D3F3006C 1DB251B0
	buffer_load_dword v80, s[20:23], 0 offen lds               // 00000000D530: E0511000 80050050
	s_add_u32 m0, 0xf00, s48                                   // 00000000D538: 807C30FF 00000F00
	v_mfma_f32_16x16x32_fp8_fp8 v[108:111], a[178:179], a[42:43], v[108:111]// 00000000D540: D3F3006C 1DB255B2
	v_mfma_f32_16x16x32_fp8_fp8 v[108:111], a[180:181], a[44:45], v[108:111]// 00000000D548: D3F3006C 1DB259B4
	buffer_load_dword v81, s[20:23], 0 offen lds               // 00000000D550: E0511000 80050051
	s_add_u32 m0, 0x1000, s48                                  // 00000000D558: 807C30FF 00001000
	v_mfma_f32_16x16x32_fp8_fp8 v[108:111], a[182:183], a[46:47], v[108:111]// 00000000D560: D3F3006C 1DB25DB6
	v_mfma_f32_16x16x32_fp8_fp8 v[144:147], a[184:185], a[40:41], v[144:147]// 00000000D568: D3F30090 1E4251B8
	buffer_load_dword v82, s[20:23], 0 offen lds               // 00000000D570: E0511000 80050052
	s_add_u32 m0, 0x1100, s48                                  // 00000000D578: 807C30FF 00001100
	v_mfma_f32_16x16x32_fp8_fp8 v[144:147], a[186:187], a[42:43], v[144:147]// 00000000D580: D3F30090 1E4255BA
	v_mfma_f32_16x16x32_fp8_fp8 v[144:147], a[188:189], a[44:45], v[144:147]// 00000000D588: D3F30090 1E4259BC
	buffer_load_dword v83, s[20:23], 0 offen lds               // 00000000D590: E0511000 80050053
	s_add_u32 m0, 0, s49                                       // 00000000D598: 807C3180
	v_mfma_f32_16x16x32_fp8_fp8 v[144:147], a[190:191], a[46:47], v[144:147]// 00000000D59C: D3F30090 1E425DBE
	v_mfma_f32_16x16x32_fp8_fp8 v[112:115], a[176:177], a[48:49], v[112:115]// 00000000D5A4: D3F30070 1DC261B0
	v_mfma_f32_16x16x32_fp8_fp8 v[112:115], a[178:179], a[50:51], v[112:115]// 00000000D5AC: D3F30070 1DC265B2
	v_mfma_f32_16x16x32_fp8_fp8 v[112:115], a[180:181], a[52:53], v[112:115]// 00000000D5B4: D3F30070 1DC269B4
	v_mfma_f32_16x16x32_fp8_fp8 v[112:115], a[182:183], a[54:55], v[112:115]// 00000000D5BC: D3F30070 1DC26DB6
	v_mfma_f32_16x16x32_fp8_fp8 v[148:151], a[184:185], a[48:49], v[148:151]// 00000000D5C4: D3F30094 1E5261B8
	v_mfma_f32_16x16x32_fp8_fp8 v[148:151], a[186:187], a[50:51], v[148:151]// 00000000D5CC: D3F30094 1E5265BA
	v_mfma_f32_16x16x32_fp8_fp8 v[148:151], a[188:189], a[52:53], v[148:151]// 00000000D5D4: D3F30094 1E5269BC
	v_mfma_f32_16x16x32_fp8_fp8 v[148:151], a[190:191], a[54:55], v[148:151]// 00000000D5DC: D3F30094 1E526DBE
	v_mfma_f32_16x16x32_fp8_fp8 v[116:119], a[176:177], a[56:57], v[116:119]// 00000000D5E4: D3F30074 1DD271B0
	v_mfma_f32_16x16x32_fp8_fp8 v[116:119], a[178:179], a[58:59], v[116:119]// 00000000D5EC: D3F30074 1DD275B2
	v_mfma_f32_16x16x32_fp8_fp8 v[116:119], a[180:181], a[60:61], v[116:119]// 00000000D5F4: D3F30074 1DD279B4
	v_mfma_f32_16x16x32_fp8_fp8 v[116:119], a[182:183], a[62:63], v[116:119]// 00000000D5FC: D3F30074 1DD27DB6
	v_mfma_f32_16x16x32_fp8_fp8 v[152:155], a[184:185], a[56:57], v[152:155]// 00000000D604: D3F30098 1E6271B8
	v_mfma_f32_16x16x32_fp8_fp8 v[152:155], a[186:187], a[58:59], v[152:155]// 00000000D60C: D3F30098 1E6275BA
	v_mfma_f32_16x16x32_fp8_fp8 v[152:155], a[188:189], a[60:61], v[152:155]// 00000000D614: D3F30098 1E6279BC
	v_mfma_f32_16x16x32_fp8_fp8 v[152:155], a[190:191], a[62:63], v[152:155]// 00000000D61C: D3F30098 1E627DBE
	v_mfma_f32_16x16x32_fp8_fp8 v[120:123], a[176:177], a[64:65], v[120:123]// 00000000D624: D3F30078 1DE281B0
	v_mfma_f32_16x16x32_fp8_fp8 v[120:123], a[178:179], a[66:67], v[120:123]// 00000000D62C: D3F30078 1DE285B2
	v_mfma_f32_16x16x32_fp8_fp8 v[120:123], a[180:181], a[68:69], v[120:123]// 00000000D634: D3F30078 1DE289B4
	v_mfma_f32_16x16x32_fp8_fp8 v[120:123], a[182:183], a[70:71], v[120:123]// 00000000D63C: D3F30078 1DE28DB6
	v_mfma_f32_16x16x32_fp8_fp8 v[156:159], a[184:185], a[64:65], v[156:159]// 00000000D644: D3F3009C 1E7281B8
	v_mfma_f32_16x16x32_fp8_fp8 v[156:159], a[186:187], a[66:67], v[156:159]// 00000000D64C: D3F3009C 1E7285BA
	v_mfma_f32_16x16x32_fp8_fp8 v[156:159], a[188:189], a[68:69], v[156:159]// 00000000D654: D3F3009C 1E7289BC
	v_mfma_f32_16x16x32_fp8_fp8 v[156:159], a[190:191], a[70:71], v[156:159]// 00000000D65C: D3F3009C 1E728DBE
	s_waitcnt vmcnt(22)                                        // 00000000D664: BF8C4F76
	s_barrier                                                  // 00000000D668: BF8A0000
	v_mfma_f32_16x16x32_fp8_fp8 v[160:163], a[144:145], a[0:1], v[160:163]// 00000000D66C: D3F300A0 1E820190
	buffer_load_dwordx4 a[176:179], v84, s[84:87], 0 offen     // 00000000D674: E05C1000 8095B054
	v_mfma_f32_16x16x32_fp8_fp8 v[160:163], a[146:147], a[2:3], v[160:163]// 00000000D67C: D3F300A0 1E820592
	v_mfma_f32_16x16x32_fp8_fp8 v[160:163], a[148:149], a[4:5], v[160:163]// 00000000D684: D3F300A0 1E820994
	ds_read_b128 a[72:75], v2 offset:37120                     // 00000000D68C: DBFE9100 48000002
	ds_read_b128 a[76:79], v2 offset:37184                     // 00000000D694: DBFE9140 4C000002
	v_mfma_f32_16x16x32_fp8_fp8 v[160:163], a[150:151], a[6:7], v[160:163]// 00000000D69C: D3F300A0 1E820D96
	v_mfma_f32_16x16x32_fp8_fp8 v[196:199], a[152:153], a[0:1], v[196:199]// 00000000D6A4: D3F300C4 1F120198
	buffer_load_dwordx4 a[180:183], v84, s[84:87], 0 offen offset:1024// 00000000D6AC: E05C1400 8095B454
	v_mfma_f32_16x16x32_fp8_fp8 v[196:199], a[154:155], a[2:3], v[196:199]// 00000000D6B4: D3F300C4 1F12059A
	v_mfma_f32_16x16x32_fp8_fp8 v[196:199], a[156:157], a[4:5], v[196:199]// 00000000D6BC: D3F300C4 1F12099C
	ds_read_b128 a[80:83], v2 offset:37632                     // 00000000D6C4: DBFE9300 50000002
	ds_read_b128 a[84:87], v2 offset:37696                     // 00000000D6CC: DBFE9340 54000002
	v_mfma_f32_16x16x32_fp8_fp8 v[196:199], a[158:159], a[6:7], v[196:199]// 00000000D6D4: D3F300C4 1F120D9E
	v_mfma_f32_16x16x32_fp8_fp8 v[164:167], a[144:145], a[8:9], v[164:167]// 00000000D6DC: D3F300A4 1E921190
	buffer_load_dwordx4 a[184:187], v85, s[84:87], 0 offen     // 00000000D6E4: E05C1000 8095B855
	v_mfma_f32_16x16x32_fp8_fp8 v[164:167], a[146:147], a[10:11], v[164:167]// 00000000D6EC: D3F300A4 1E921592
	v_mfma_f32_16x16x32_fp8_fp8 v[164:167], a[148:149], a[12:13], v[164:167]// 00000000D6F4: D3F300A4 1E921994
	ds_read_b128 a[88:91], v2 offset:38144                     // 00000000D6FC: DBFE9500 58000002
	ds_read_b128 a[92:95], v2 offset:38208                     // 00000000D704: DBFE9540 5C000002
	v_mfma_f32_16x16x32_fp8_fp8 v[164:167], a[150:151], a[14:15], v[164:167]// 00000000D70C: D3F300A4 1E921D96
	v_mfma_f32_16x16x32_fp8_fp8 v[200:203], a[152:153], a[8:9], v[200:203]// 00000000D714: D3F300C8 1F221198
	buffer_load_dwordx4 a[188:191], v85, s[84:87], 0 offen offset:1024// 00000000D71C: E05C1400 8095BC55
	v_mfma_f32_16x16x32_fp8_fp8 v[200:203], a[154:155], a[10:11], v[200:203]// 00000000D724: D3F300C8 1F22159A
	v_mfma_f32_16x16x32_fp8_fp8 v[200:203], a[156:157], a[12:13], v[200:203]// 00000000D72C: D3F300C8 1F22199C
	ds_read_b128 a[96:99], v2 offset:38656                     // 00000000D734: DBFE9700 60000002
	ds_read_b128 a[100:103], v2 offset:38720                   // 00000000D73C: DBFE9740 64000002
	v_mfma_f32_16x16x32_fp8_fp8 v[200:203], a[158:159], a[14:15], v[200:203]// 00000000D744: D3F300C8 1F221D9E
	v_mfma_f32_16x16x32_fp8_fp8 v[168:171], a[144:145], a[16:17], v[168:171]// 00000000D74C: D3F300A8 1EA22190
	v_mfma_f32_16x16x32_fp8_fp8 v[168:171], a[146:147], a[18:19], v[168:171]// 00000000D754: D3F300A8 1EA22592
	v_mfma_f32_16x16x32_fp8_fp8 v[168:171], a[148:149], a[20:21], v[168:171]// 00000000D75C: D3F300A8 1EA22994
	ds_read_b128 a[104:107], v2 offset:39168                   // 00000000D764: DBFE9900 68000002
	ds_read_b128 a[108:111], v2 offset:39232                   // 00000000D76C: DBFE9940 6C000002
	v_mfma_f32_16x16x32_fp8_fp8 v[168:171], a[150:151], a[22:23], v[168:171]// 00000000D774: D3F300A8 1EA22D96
	v_mfma_f32_16x16x32_fp8_fp8 v[204:207], a[152:153], a[16:17], v[204:207]// 00000000D77C: D3F300CC 1F322198
	v_mfma_f32_16x16x32_fp8_fp8 v[204:207], a[154:155], a[18:19], v[204:207]// 00000000D784: D3F300CC 1F32259A
	v_mfma_f32_16x16x32_fp8_fp8 v[204:207], a[156:157], a[20:21], v[204:207]// 00000000D78C: D3F300CC 1F32299C
	ds_read_b128 a[112:115], v2 offset:39680                   // 00000000D794: DBFE9B00 70000002
	ds_read_b128 a[116:119], v2 offset:39744                   // 00000000D79C: DBFE9B40 74000002
	v_mfma_f32_16x16x32_fp8_fp8 v[204:207], a[158:159], a[22:23], v[204:207]// 00000000D7A4: D3F300CC 1F322D9E
	v_mfma_f32_16x16x32_fp8_fp8 v[172:175], a[144:145], a[24:25], v[172:175]// 00000000D7AC: D3F300AC 1EB23190
	v_mfma_f32_16x16x32_fp8_fp8 v[172:175], a[146:147], a[26:27], v[172:175]// 00000000D7B4: D3F300AC 1EB23592
	v_mfma_f32_16x16x32_fp8_fp8 v[172:175], a[148:149], a[28:29], v[172:175]// 00000000D7BC: D3F300AC 1EB23994
	ds_read_b128 a[120:123], v2 offset:40192                   // 00000000D7C4: DBFE9D00 78000002
	ds_read_b128 a[124:127], v2 offset:40256                   // 00000000D7CC: DBFE9D40 7C000002
	v_mfma_f32_16x16x32_fp8_fp8 v[172:175], a[150:151], a[30:31], v[172:175]// 00000000D7D4: D3F300AC 1EB23D96
	v_mfma_f32_16x16x32_fp8_fp8 v[208:211], a[152:153], a[24:25], v[208:211]// 00000000D7DC: D3F300D0 1F423198
	v_mfma_f32_16x16x32_fp8_fp8 v[208:211], a[154:155], a[26:27], v[208:211]// 00000000D7E4: D3F300D0 1F42359A
	v_mfma_f32_16x16x32_fp8_fp8 v[208:211], a[156:157], a[28:29], v[208:211]// 00000000D7EC: D3F300D0 1F42399C
	ds_read_b128 a[128:131], v2 offset:40704                   // 00000000D7F4: DBFE9F00 80000002
	ds_read_b128 a[132:135], v2 offset:40768                   // 00000000D7FC: DBFE9F40 84000002
	v_mfma_f32_16x16x32_fp8_fp8 v[208:211], a[158:159], a[30:31], v[208:211]// 00000000D804: D3F300D0 1F423D9E
	v_mfma_f32_16x16x32_fp8_fp8 v[176:179], a[144:145], a[32:33], v[176:179]// 00000000D80C: D3F300B0 1EC24190
	v_mfma_f32_16x16x32_fp8_fp8 v[176:179], a[146:147], a[34:35], v[176:179]// 00000000D814: D3F300B0 1EC24592
	v_mfma_f32_16x16x32_fp8_fp8 v[176:179], a[148:149], a[36:37], v[176:179]// 00000000D81C: D3F300B0 1EC24994
	ds_read_b128 a[136:139], v2 offset:41216                   // 00000000D824: DBFEA100 88000002
	ds_read_b128 a[140:143], v2 offset:41280                   // 00000000D82C: DBFEA140 8C000002
	v_mfma_f32_16x16x32_fp8_fp8 v[176:179], a[150:151], a[38:39], v[176:179]// 00000000D834: D3F300B0 1EC24D96
	v_mfma_f32_16x16x32_fp8_fp8 v[212:215], a[152:153], a[32:33], v[212:215]// 00000000D83C: D3F300D4 1F524198
	v_mfma_f32_16x16x32_fp8_fp8 v[212:215], a[154:155], a[34:35], v[212:215]// 00000000D844: D3F300D4 1F52459A
	v_mfma_f32_16x16x32_fp8_fp8 v[212:215], a[156:157], a[36:37], v[212:215]// 00000000D84C: D3F300D4 1F52499C
	v_mfma_f32_16x16x32_fp8_fp8 v[212:215], a[158:159], a[38:39], v[212:215]// 00000000D854: D3F300D4 1F524D9E
	v_mfma_f32_16x16x32_fp8_fp8 v[180:183], a[144:145], a[40:41], v[180:183]// 00000000D85C: D3F300B4 1ED25190
	v_mfma_f32_16x16x32_fp8_fp8 v[180:183], a[146:147], a[42:43], v[180:183]// 00000000D864: D3F300B4 1ED25592
	v_mfma_f32_16x16x32_fp8_fp8 v[180:183], a[148:149], a[44:45], v[180:183]// 00000000D86C: D3F300B4 1ED25994
	v_mfma_f32_16x16x32_fp8_fp8 v[180:183], a[150:151], a[46:47], v[180:183]// 00000000D874: D3F300B4 1ED25D96
	v_mfma_f32_16x16x32_fp8_fp8 v[216:219], a[152:153], a[40:41], v[216:219]// 00000000D87C: D3F300D8 1F625198
	v_mfma_f32_16x16x32_fp8_fp8 v[216:219], a[154:155], a[42:43], v[216:219]// 00000000D884: D3F300D8 1F62559A
	v_mfma_f32_16x16x32_fp8_fp8 v[216:219], a[156:157], a[44:45], v[216:219]// 00000000D88C: D3F300D8 1F62599C
	v_mfma_f32_16x16x32_fp8_fp8 v[216:219], a[158:159], a[46:47], v[216:219]// 00000000D894: D3F300D8 1F625D9E
	v_mfma_f32_16x16x32_fp8_fp8 v[184:187], a[144:145], a[48:49], v[184:187]// 00000000D89C: D3F300B8 1EE26190
	v_mfma_f32_16x16x32_fp8_fp8 v[184:187], a[146:147], a[50:51], v[184:187]// 00000000D8A4: D3F300B8 1EE26592
	v_mfma_f32_16x16x32_fp8_fp8 v[184:187], a[148:149], a[52:53], v[184:187]// 00000000D8AC: D3F300B8 1EE26994
	v_mfma_f32_16x16x32_fp8_fp8 v[184:187], a[150:151], a[54:55], v[184:187]// 00000000D8B4: D3F300B8 1EE26D96
	v_mfma_f32_16x16x32_fp8_fp8 v[220:223], a[152:153], a[48:49], v[220:223]// 00000000D8BC: D3F300DC 1F726198
	v_mfma_f32_16x16x32_fp8_fp8 v[220:223], a[154:155], a[50:51], v[220:223]// 00000000D8C4: D3F300DC 1F72659A
	v_mfma_f32_16x16x32_fp8_fp8 v[220:223], a[156:157], a[52:53], v[220:223]// 00000000D8CC: D3F300DC 1F72699C
	v_mfma_f32_16x16x32_fp8_fp8 v[220:223], a[158:159], a[54:55], v[220:223]// 00000000D8D4: D3F300DC 1F726D9E
	v_mfma_f32_16x16x32_fp8_fp8 v[188:191], a[144:145], a[56:57], v[188:191]// 00000000D8DC: D3F300BC 1EF27190
	v_mfma_f32_16x16x32_fp8_fp8 v[188:191], a[146:147], a[58:59], v[188:191]// 00000000D8E4: D3F300BC 1EF27592
	v_mfma_f32_16x16x32_fp8_fp8 v[188:191], a[148:149], a[60:61], v[188:191]// 00000000D8EC: D3F300BC 1EF27994
	v_mfma_f32_16x16x32_fp8_fp8 v[188:191], a[150:151], a[62:63], v[188:191]// 00000000D8F4: D3F300BC 1EF27D96
	v_mfma_f32_16x16x32_fp8_fp8 v[224:227], a[152:153], a[56:57], v[224:227]// 00000000D8FC: D3F300E0 1F827198
	v_mfma_f32_16x16x32_fp8_fp8 v[224:227], a[154:155], a[58:59], v[224:227]// 00000000D904: D3F300E0 1F82759A
	v_mfma_f32_16x16x32_fp8_fp8 v[224:227], a[156:157], a[60:61], v[224:227]// 00000000D90C: D3F300E0 1F82799C
	v_mfma_f32_16x16x32_fp8_fp8 v[224:227], a[158:159], a[62:63], v[224:227]// 00000000D914: D3F300E0 1F827D9E
	v_mfma_f32_16x16x32_fp8_fp8 v[192:195], a[144:145], a[64:65], v[192:195]// 00000000D91C: D3F300C0 1F028190
	s_add_u32 s60, 0x180, s80                                  // 00000000D924: 803C50FF 00000180
	s_cmp_lt_u32 s60, s81                                      // 00000000D92C: BF0A513C
	s_cselect_b32 s57, s57, 0                                  // 00000000D930: 85398039
	v_mfma_f32_16x16x32_fp8_fp8 v[192:195], a[146:147], a[66:67], v[192:195]// 00000000D934: D3F300C0 1F028592
	s_add_u32 s60, 0x100, s80                                  // 00000000D93C: 803C50FF 00000100
	s_cmp_lt_u32 s60, s81                                      // 00000000D944: BF0A513C
	s_cselect_b32 s58, s58, 0                                  // 00000000D948: 853A803A
	v_mfma_f32_16x16x32_fp8_fp8 v[192:195], a[148:149], a[68:69], v[192:195]// 00000000D94C: D3F300C0 1F028994
	s_add_u32 s60, 0x100, s80                                  // 00000000D954: 803C50FF 00000100
	s_cmp_lt_u32 s60, s81                                      // 00000000D95C: BF0A513C
	s_cselect_b32 s83, s83, 0                                  // 00000000D960: 85538053
	v_mfma_f32_16x16x32_fp8_fp8 v[192:195], a[150:151], a[70:71], v[192:195]// 00000000D964: D3F300C0 1F028D96
	s_add_u32 s24, s58, s24                                    // 00000000D96C: 8018183A
	s_addc_u32 s25, 0, s25                                     // 00000000D970: 82191980
	v_mfma_f32_16x16x32_fp8_fp8 v[228:231], a[152:153], a[64:65], v[228:231]// 00000000D974: D3F300E4 1F928198
	s_add_u32 s20, s57, s20                                    // 00000000D97C: 80141439
	s_addc_u32 s21, 0, s21                                     // 00000000D980: 82151580
	v_mfma_f32_16x16x32_fp8_fp8 v[228:231], a[154:155], a[66:67], v[228:231]// 00000000D984: D3F300E4 1F92859A
	s_add_u32 s84, s83, s84                                    // 00000000D98C: 80545453
	s_addc_u32 s85, 0, s85                                     // 00000000D990: 82555580
	v_mfma_f32_16x16x32_fp8_fp8 v[228:231], a[156:157], a[68:69], v[228:231]// 00000000D994: D3F300E4 1F92899C
	v_mfma_f32_16x16x32_fp8_fp8 v[228:231], a[158:159], a[70:71], v[228:231]// 00000000D99C: D3F300E4 1F928D9E
	s_addk_i32 s80, 0x80                                       // 00000000D9A4: B7500080
	s_cmp_lt_i32 s80, s81                                      // 00000000D9A8: BF045150
	s_cbranch_scc0 label_2DA3                                  // 00000000D9AC: BF8401B4
	s_waitcnt vmcnt(22) lgkmcnt(0)                             // 00000000D9B0: BF8C4076
	v_mfma_f32_16x16x32_fp8_fp8 v[88:91], a[160:161], a[72:73], v[88:91]// 00000000D9B4: D3F30058 1D6291A0
	buffer_load_dwordx4 a[144:147], v84, s[24:27], 0 offen     // 00000000D9BC: E05C1000 80869054
	v_mfma_f32_16x16x32_fp8_fp8 v[88:91], a[162:163], a[74:75], v[88:91]// 00000000D9C4: D3F30058 1D6295A2
	v_mfma_f32_16x16x32_fp8_fp8 v[88:91], a[164:165], a[76:77], v[88:91]// 00000000D9CC: D3F30058 1D6299A4
	v_mfma_f32_16x16x32_fp8_fp8 v[88:91], a[166:167], a[78:79], v[88:91]// 00000000D9D4: D3F30058 1D629DA6
	v_mfma_f32_16x16x32_fp8_fp8 v[124:127], a[168:169], a[72:73], v[124:127]// 00000000D9DC: D3F3007C 1DF291A8
	buffer_load_dwordx4 a[148:151], v84, s[24:27], 0 offen offset:1024// 00000000D9E4: E05C1400 80869454
	v_mfma_f32_16x16x32_fp8_fp8 v[124:127], a[170:171], a[74:75], v[124:127]// 00000000D9EC: D3F3007C 1DF295AA
	v_mfma_f32_16x16x32_fp8_fp8 v[124:127], a[172:173], a[76:77], v[124:127]// 00000000D9F4: D3F3007C 1DF299AC
	v_mfma_f32_16x16x32_fp8_fp8 v[124:127], a[174:175], a[78:79], v[124:127]// 00000000D9FC: D3F3007C 1DF29DAE
	v_mfma_f32_16x16x32_fp8_fp8 v[92:95], a[160:161], a[80:81], v[92:95]// 00000000DA04: D3F3005C 1D72A1A0
	buffer_load_dwordx4 a[152:155], v85, s[24:27], 0 offen     // 00000000DA0C: E05C1000 80869855
	v_mfma_f32_16x16x32_fp8_fp8 v[92:95], a[162:163], a[82:83], v[92:95]// 00000000DA14: D3F3005C 1D72A5A2
	v_mfma_f32_16x16x32_fp8_fp8 v[92:95], a[164:165], a[84:85], v[92:95]// 00000000DA1C: D3F3005C 1D72A9A4
	v_mfma_f32_16x16x32_fp8_fp8 v[92:95], a[166:167], a[86:87], v[92:95]// 00000000DA24: D3F3005C 1D72ADA6
	v_mfma_f32_16x16x32_fp8_fp8 v[128:131], a[168:169], a[80:81], v[128:131]// 00000000DA2C: D3F30080 1E02A1A8
	buffer_load_dwordx4 a[156:159], v85, s[24:27], 0 offen offset:1024// 00000000DA34: E05C1400 80869C55
	buffer_load_dword v66, s[20:23], 0 offen lds               // 00000000DA3C: E0511000 80050042
	s_add_u32 m0, 0x100, s49                                   // 00000000DA44: 807C31FF 00000100
	v_mfma_f32_16x16x32_fp8_fp8 v[128:131], a[170:171], a[82:83], v[128:131]// 00000000DA4C: D3F30080 1E02A5AA
	v_mfma_f32_16x16x32_fp8_fp8 v[128:131], a[172:173], a[84:85], v[128:131]// 00000000DA54: D3F30080 1E02A9AC
	buffer_load_dword v67, s[20:23], 0 offen lds               // 00000000DA5C: E0511000 80050043
	s_add_u32 m0, 0x200, s49                                   // 00000000DA64: 807C31FF 00000200
	v_mfma_f32_16x16x32_fp8_fp8 v[128:131], a[174:175], a[86:87], v[128:131]// 00000000DA6C: D3F30080 1E02ADAE
	v_mfma_f32_16x16x32_fp8_fp8 v[96:99], a[160:161], a[88:89], v[96:99]// 00000000DA74: D3F30060 1D82B1A0
	buffer_load_dword v68, s[20:23], 0 offen lds               // 00000000DA7C: E0511000 80050044
	s_add_u32 m0, 0x300, s49                                   // 00000000DA84: 807C31FF 00000300
	v_mfma_f32_16x16x32_fp8_fp8 v[96:99], a[162:163], a[90:91], v[96:99]// 00000000DA8C: D3F30060 1D82B5A2
	v_mfma_f32_16x16x32_fp8_fp8 v[96:99], a[164:165], a[92:93], v[96:99]// 00000000DA94: D3F30060 1D82B9A4
	buffer_load_dword v69, s[20:23], 0 offen lds               // 00000000DA9C: E0511000 80050045
	s_add_u32 m0, 0x400, s49                                   // 00000000DAA4: 807C31FF 00000400
	v_mfma_f32_16x16x32_fp8_fp8 v[96:99], a[166:167], a[94:95], v[96:99]// 00000000DAAC: D3F30060 1D82BDA6
	v_mfma_f32_16x16x32_fp8_fp8 v[132:135], a[168:169], a[88:89], v[132:135]// 00000000DAB4: D3F30084 1E12B1A8
	buffer_load_dword v70, s[20:23], 0 offen lds               // 00000000DABC: E0511000 80050046
	s_add_u32 m0, 0x500, s49                                   // 00000000DAC4: 807C31FF 00000500
	v_mfma_f32_16x16x32_fp8_fp8 v[132:135], a[170:171], a[90:91], v[132:135]// 00000000DACC: D3F30084 1E12B5AA
	v_mfma_f32_16x16x32_fp8_fp8 v[132:135], a[172:173], a[92:93], v[132:135]// 00000000DAD4: D3F30084 1E12B9AC
	buffer_load_dword v71, s[20:23], 0 offen lds               // 00000000DADC: E0511000 80050047
	s_add_u32 m0, 0x600, s49                                   // 00000000DAE4: 807C31FF 00000600
	v_mfma_f32_16x16x32_fp8_fp8 v[132:135], a[174:175], a[94:95], v[132:135]// 00000000DAEC: D3F30084 1E12BDAE
	v_mfma_f32_16x16x32_fp8_fp8 v[100:103], a[160:161], a[96:97], v[100:103]// 00000000DAF4: D3F30064 1D92C1A0
	buffer_load_dword v72, s[20:23], 0 offen lds               // 00000000DAFC: E0511000 80050048
	s_add_u32 m0, 0x700, s49                                   // 00000000DB04: 807C31FF 00000700
	v_mfma_f32_16x16x32_fp8_fp8 v[100:103], a[162:163], a[98:99], v[100:103]// 00000000DB0C: D3F30064 1D92C5A2
	v_mfma_f32_16x16x32_fp8_fp8 v[100:103], a[164:165], a[100:101], v[100:103]// 00000000DB14: D3F30064 1D92C9A4
	buffer_load_dword v73, s[20:23], 0 offen lds               // 00000000DB1C: E0511000 80050049
	s_add_u32 m0, 0x800, s49                                   // 00000000DB24: 807C31FF 00000800
	v_mfma_f32_16x16x32_fp8_fp8 v[100:103], a[166:167], a[102:103], v[100:103]// 00000000DB2C: D3F30064 1D92CDA6
	v_mfma_f32_16x16x32_fp8_fp8 v[136:139], a[168:169], a[96:97], v[136:139]// 00000000DB34: D3F30088 1E22C1A8
	buffer_load_dword v74, s[20:23], 0 offen lds               // 00000000DB3C: E0511000 8005004A
	s_add_u32 m0, 0x900, s49                                   // 00000000DB44: 807C31FF 00000900
	v_mfma_f32_16x16x32_fp8_fp8 v[136:139], a[170:171], a[98:99], v[136:139]// 00000000DB4C: D3F30088 1E22C5AA
	v_mfma_f32_16x16x32_fp8_fp8 v[136:139], a[172:173], a[100:101], v[136:139]// 00000000DB54: D3F30088 1E22C9AC
	buffer_load_dword v75, s[20:23], 0 offen lds               // 00000000DB5C: E0511000 8005004B
	s_add_u32 m0, 0xa00, s49                                   // 00000000DB64: 807C31FF 00000A00
	v_mfma_f32_16x16x32_fp8_fp8 v[136:139], a[174:175], a[102:103], v[136:139]// 00000000DB6C: D3F30088 1E22CDAE
	v_mfma_f32_16x16x32_fp8_fp8 v[104:107], a[160:161], a[104:105], v[104:107]// 00000000DB74: D3F30068 1DA2D1A0
	buffer_load_dword v76, s[20:23], 0 offen lds               // 00000000DB7C: E0511000 8005004C
	s_add_u32 m0, 0xb00, s49                                   // 00000000DB84: 807C31FF 00000B00
	v_mfma_f32_16x16x32_fp8_fp8 v[104:107], a[162:163], a[106:107], v[104:107]// 00000000DB8C: D3F30068 1DA2D5A2
	v_mfma_f32_16x16x32_fp8_fp8 v[104:107], a[164:165], a[108:109], v[104:107]// 00000000DB94: D3F30068 1DA2D9A4
	buffer_load_dword v77, s[20:23], 0 offen lds               // 00000000DB9C: E0511000 8005004D
	s_add_u32 m0, 0xc00, s49                                   // 00000000DBA4: 807C31FF 00000C00
	v_mfma_f32_16x16x32_fp8_fp8 v[104:107], a[166:167], a[110:111], v[104:107]// 00000000DBAC: D3F30068 1DA2DDA6
	v_mfma_f32_16x16x32_fp8_fp8 v[140:143], a[168:169], a[104:105], v[140:143]// 00000000DBB4: D3F3008C 1E32D1A8
	buffer_load_dword v78, s[20:23], 0 offen lds               // 00000000DBBC: E0511000 8005004E
	s_add_u32 m0, 0xd00, s49                                   // 00000000DBC4: 807C31FF 00000D00
	v_mfma_f32_16x16x32_fp8_fp8 v[140:143], a[170:171], a[106:107], v[140:143]// 00000000DBCC: D3F3008C 1E32D5AA
	v_mfma_f32_16x16x32_fp8_fp8 v[140:143], a[172:173], a[108:109], v[140:143]// 00000000DBD4: D3F3008C 1E32D9AC
	buffer_load_dword v79, s[20:23], 0 offen lds               // 00000000DBDC: E0511000 8005004F
	s_add_u32 m0, 0xe00, s49                                   // 00000000DBE4: 807C31FF 00000E00
	v_mfma_f32_16x16x32_fp8_fp8 v[140:143], a[174:175], a[110:111], v[140:143]// 00000000DBEC: D3F3008C 1E32DDAE
	v_mfma_f32_16x16x32_fp8_fp8 v[108:111], a[160:161], a[112:113], v[108:111]// 00000000DBF4: D3F3006C 1DB2E1A0
	buffer_load_dword v80, s[20:23], 0 offen lds               // 00000000DBFC: E0511000 80050050
	s_add_u32 m0, 0xf00, s49                                   // 00000000DC04: 807C31FF 00000F00
	v_mfma_f32_16x16x32_fp8_fp8 v[108:111], a[162:163], a[114:115], v[108:111]// 00000000DC0C: D3F3006C 1DB2E5A2
	v_mfma_f32_16x16x32_fp8_fp8 v[108:111], a[164:165], a[116:117], v[108:111]// 00000000DC14: D3F3006C 1DB2E9A4
	buffer_load_dword v81, s[20:23], 0 offen lds               // 00000000DC1C: E0511000 80050051
	s_add_u32 m0, 0x1000, s49                                  // 00000000DC24: 807C31FF 00001000
	v_mfma_f32_16x16x32_fp8_fp8 v[108:111], a[166:167], a[118:119], v[108:111]// 00000000DC2C: D3F3006C 1DB2EDA6
	v_mfma_f32_16x16x32_fp8_fp8 v[144:147], a[168:169], a[112:113], v[144:147]// 00000000DC34: D3F30090 1E42E1A8
	buffer_load_dword v82, s[20:23], 0 offen lds               // 00000000DC3C: E0511000 80050052
	s_add_u32 m0, 0x1100, s49                                  // 00000000DC44: 807C31FF 00001100
	v_mfma_f32_16x16x32_fp8_fp8 v[144:147], a[170:171], a[114:115], v[144:147]// 00000000DC4C: D3F30090 1E42E5AA
	v_mfma_f32_16x16x32_fp8_fp8 v[144:147], a[172:173], a[116:117], v[144:147]// 00000000DC54: D3F30090 1E42E9AC
	buffer_load_dword v83, s[20:23], 0 offen lds               // 00000000DC5C: E0511000 80050053
	s_add_u32 m0, 0, s50                                       // 00000000DC64: 807C3280
	v_mfma_f32_16x16x32_fp8_fp8 v[144:147], a[174:175], a[118:119], v[144:147]// 00000000DC68: D3F30090 1E42EDAE
	v_mfma_f32_16x16x32_fp8_fp8 v[112:115], a[160:161], a[120:121], v[112:115]// 00000000DC70: D3F30070 1DC2F1A0
	v_mfma_f32_16x16x32_fp8_fp8 v[112:115], a[162:163], a[122:123], v[112:115]// 00000000DC78: D3F30070 1DC2F5A2
	v_mfma_f32_16x16x32_fp8_fp8 v[112:115], a[164:165], a[124:125], v[112:115]// 00000000DC80: D3F30070 1DC2F9A4
	v_mfma_f32_16x16x32_fp8_fp8 v[112:115], a[166:167], a[126:127], v[112:115]// 00000000DC88: D3F30070 1DC2FDA6
	v_mfma_f32_16x16x32_fp8_fp8 v[148:151], a[168:169], a[120:121], v[148:151]// 00000000DC90: D3F30094 1E52F1A8
	v_mfma_f32_16x16x32_fp8_fp8 v[148:151], a[170:171], a[122:123], v[148:151]// 00000000DC98: D3F30094 1E52F5AA
	v_mfma_f32_16x16x32_fp8_fp8 v[148:151], a[172:173], a[124:125], v[148:151]// 00000000DCA0: D3F30094 1E52F9AC
	v_mfma_f32_16x16x32_fp8_fp8 v[148:151], a[174:175], a[126:127], v[148:151]// 00000000DCA8: D3F30094 1E52FDAE
	v_mfma_f32_16x16x32_fp8_fp8 v[116:119], a[160:161], a[128:129], v[116:119]// 00000000DCB0: D3F30074 1DD301A0
	v_mfma_f32_16x16x32_fp8_fp8 v[116:119], a[162:163], a[130:131], v[116:119]// 00000000DCB8: D3F30074 1DD305A2
	v_mfma_f32_16x16x32_fp8_fp8 v[116:119], a[164:165], a[132:133], v[116:119]// 00000000DCC0: D3F30074 1DD309A4
	v_mfma_f32_16x16x32_fp8_fp8 v[116:119], a[166:167], a[134:135], v[116:119]// 00000000DCC8: D3F30074 1DD30DA6
	v_mfma_f32_16x16x32_fp8_fp8 v[152:155], a[168:169], a[128:129], v[152:155]// 00000000DCD0: D3F30098 1E6301A8
	v_mfma_f32_16x16x32_fp8_fp8 v[152:155], a[170:171], a[130:131], v[152:155]// 00000000DCD8: D3F30098 1E6305AA
	v_mfma_f32_16x16x32_fp8_fp8 v[152:155], a[172:173], a[132:133], v[152:155]// 00000000DCE0: D3F30098 1E6309AC
	v_mfma_f32_16x16x32_fp8_fp8 v[152:155], a[174:175], a[134:135], v[152:155]// 00000000DCE8: D3F30098 1E630DAE
	v_mfma_f32_16x16x32_fp8_fp8 v[120:123], a[160:161], a[136:137], v[120:123]// 00000000DCF0: D3F30078 1DE311A0
	v_mfma_f32_16x16x32_fp8_fp8 v[120:123], a[162:163], a[138:139], v[120:123]// 00000000DCF8: D3F30078 1DE315A2
	v_mfma_f32_16x16x32_fp8_fp8 v[120:123], a[164:165], a[140:141], v[120:123]// 00000000DD00: D3F30078 1DE319A4
	v_mfma_f32_16x16x32_fp8_fp8 v[120:123], a[166:167], a[142:143], v[120:123]// 00000000DD08: D3F30078 1DE31DA6
	v_mfma_f32_16x16x32_fp8_fp8 v[156:159], a[168:169], a[136:137], v[156:159]// 00000000DD10: D3F3009C 1E7311A8
	v_mfma_f32_16x16x32_fp8_fp8 v[156:159], a[170:171], a[138:139], v[156:159]// 00000000DD18: D3F3009C 1E7315AA
	v_mfma_f32_16x16x32_fp8_fp8 v[156:159], a[172:173], a[140:141], v[156:159]// 00000000DD20: D3F3009C 1E7319AC
	v_mfma_f32_16x16x32_fp8_fp8 v[156:159], a[174:175], a[142:143], v[156:159]// 00000000DD28: D3F3009C 1E731DAE
	s_waitcnt vmcnt(22)                                        // 00000000DD30: BF8C4F76
	s_barrier                                                  // 00000000DD34: BF8A0000
	v_mfma_f32_16x16x32_fp8_fp8 v[160:163], a[176:177], a[72:73], v[160:163]// 00000000DD38: D3F300A0 1E8291B0
	buffer_load_dwordx4 a[160:163], v84, s[84:87], 0 offen     // 00000000DD40: E05C1000 8095A054
	v_mfma_f32_16x16x32_fp8_fp8 v[160:163], a[178:179], a[74:75], v[160:163]// 00000000DD48: D3F300A0 1E8295B2
	v_mfma_f32_16x16x32_fp8_fp8 v[160:163], a[180:181], a[76:77], v[160:163]// 00000000DD50: D3F300A0 1E8299B4
	ds_read_b128 a[0:3], v2                                    // 00000000DD58: DBFE0000 00000002
	ds_read_b128 a[4:7], v2 offset:64                          // 00000000DD60: DBFE0040 04000002
	v_mfma_f32_16x16x32_fp8_fp8 v[160:163], a[182:183], a[78:79], v[160:163]// 00000000DD68: D3F300A0 1E829DB6
	v_mfma_f32_16x16x32_fp8_fp8 v[196:199], a[184:185], a[72:73], v[196:199]// 00000000DD70: D3F300C4 1F1291B8
	buffer_load_dwordx4 a[164:167], v84, s[84:87], 0 offen offset:1024// 00000000DD78: E05C1400 8095A454
	v_mfma_f32_16x16x32_fp8_fp8 v[196:199], a[186:187], a[74:75], v[196:199]// 00000000DD80: D3F300C4 1F1295BA
	v_mfma_f32_16x16x32_fp8_fp8 v[196:199], a[188:189], a[76:77], v[196:199]// 00000000DD88: D3F300C4 1F1299BC
	ds_read_b128 a[8:11], v2 offset:512                        // 00000000DD90: DBFE0200 08000002
	ds_read_b128 a[12:15], v2 offset:576                       // 00000000DD98: DBFE0240 0C000002
	v_mfma_f32_16x16x32_fp8_fp8 v[196:199], a[190:191], a[78:79], v[196:199]// 00000000DDA0: D3F300C4 1F129DBE
	v_mfma_f32_16x16x32_fp8_fp8 v[164:167], a[176:177], a[80:81], v[164:167]// 00000000DDA8: D3F300A4 1E92A1B0
	buffer_load_dwordx4 a[168:171], v85, s[84:87], 0 offen     // 00000000DDB0: E05C1000 8095A855
	v_mfma_f32_16x16x32_fp8_fp8 v[164:167], a[178:179], a[82:83], v[164:167]// 00000000DDB8: D3F300A4 1E92A5B2
	v_mfma_f32_16x16x32_fp8_fp8 v[164:167], a[180:181], a[84:85], v[164:167]// 00000000DDC0: D3F300A4 1E92A9B4
	ds_read_b128 a[16:19], v2 offset:1024                      // 00000000DDC8: DBFE0400 10000002
	ds_read_b128 a[20:23], v2 offset:1088                      // 00000000DDD0: DBFE0440 14000002
	v_mfma_f32_16x16x32_fp8_fp8 v[164:167], a[182:183], a[86:87], v[164:167]// 00000000DDD8: D3F300A4 1E92ADB6
	v_mfma_f32_16x16x32_fp8_fp8 v[200:203], a[184:185], a[80:81], v[200:203]// 00000000DDE0: D3F300C8 1F22A1B8
	buffer_load_dwordx4 a[172:175], v85, s[84:87], 0 offen offset:1024// 00000000DDE8: E05C1400 8095AC55
	v_mfma_f32_16x16x32_fp8_fp8 v[200:203], a[186:187], a[82:83], v[200:203]// 00000000DDF0: D3F300C8 1F22A5BA
	v_mfma_f32_16x16x32_fp8_fp8 v[200:203], a[188:189], a[84:85], v[200:203]// 00000000DDF8: D3F300C8 1F22A9BC
	ds_read_b128 a[24:27], v2 offset:1536                      // 00000000DE00: DBFE0600 18000002
	ds_read_b128 a[28:31], v2 offset:1600                      // 00000000DE08: DBFE0640 1C000002
	v_mfma_f32_16x16x32_fp8_fp8 v[200:203], a[190:191], a[86:87], v[200:203]// 00000000DE10: D3F300C8 1F22ADBE
	v_mfma_f32_16x16x32_fp8_fp8 v[168:171], a[176:177], a[88:89], v[168:171]// 00000000DE18: D3F300A8 1EA2B1B0
	v_mfma_f32_16x16x32_fp8_fp8 v[168:171], a[178:179], a[90:91], v[168:171]// 00000000DE20: D3F300A8 1EA2B5B2
	v_mfma_f32_16x16x32_fp8_fp8 v[168:171], a[180:181], a[92:93], v[168:171]// 00000000DE28: D3F300A8 1EA2B9B4
	ds_read_b128 a[32:35], v2 offset:2048                      // 00000000DE30: DBFE0800 20000002
	ds_read_b128 a[36:39], v2 offset:2112                      // 00000000DE38: DBFE0840 24000002
	v_mfma_f32_16x16x32_fp8_fp8 v[168:171], a[182:183], a[94:95], v[168:171]// 00000000DE40: D3F300A8 1EA2BDB6
	v_mfma_f32_16x16x32_fp8_fp8 v[204:207], a[184:185], a[88:89], v[204:207]// 00000000DE48: D3F300CC 1F32B1B8
	v_mfma_f32_16x16x32_fp8_fp8 v[204:207], a[186:187], a[90:91], v[204:207]// 00000000DE50: D3F300CC 1F32B5BA
	v_mfma_f32_16x16x32_fp8_fp8 v[204:207], a[188:189], a[92:93], v[204:207]// 00000000DE58: D3F300CC 1F32B9BC
	ds_read_b128 a[40:43], v2 offset:2560                      // 00000000DE60: DBFE0A00 28000002
	ds_read_b128 a[44:47], v2 offset:2624                      // 00000000DE68: DBFE0A40 2C000002
	v_mfma_f32_16x16x32_fp8_fp8 v[204:207], a[190:191], a[94:95], v[204:207]// 00000000DE70: D3F300CC 1F32BDBE
	v_mfma_f32_16x16x32_fp8_fp8 v[172:175], a[176:177], a[96:97], v[172:175]// 00000000DE78: D3F300AC 1EB2C1B0
	v_mfma_f32_16x16x32_fp8_fp8 v[172:175], a[178:179], a[98:99], v[172:175]// 00000000DE80: D3F300AC 1EB2C5B2
	v_mfma_f32_16x16x32_fp8_fp8 v[172:175], a[180:181], a[100:101], v[172:175]// 00000000DE88: D3F300AC 1EB2C9B4
	ds_read_b128 a[48:51], v2 offset:3072                      // 00000000DE90: DBFE0C00 30000002
	ds_read_b128 a[52:55], v2 offset:3136                      // 00000000DE98: DBFE0C40 34000002
	v_mfma_f32_16x16x32_fp8_fp8 v[172:175], a[182:183], a[102:103], v[172:175]// 00000000DEA0: D3F300AC 1EB2CDB6
	v_mfma_f32_16x16x32_fp8_fp8 v[208:211], a[184:185], a[96:97], v[208:211]// 00000000DEA8: D3F300D0 1F42C1B8
	v_mfma_f32_16x16x32_fp8_fp8 v[208:211], a[186:187], a[98:99], v[208:211]// 00000000DEB0: D3F300D0 1F42C5BA
	v_mfma_f32_16x16x32_fp8_fp8 v[208:211], a[188:189], a[100:101], v[208:211]// 00000000DEB8: D3F300D0 1F42C9BC
	ds_read_b128 a[56:59], v2 offset:3584                      // 00000000DEC0: DBFE0E00 38000002
	ds_read_b128 a[60:63], v2 offset:3648                      // 00000000DEC8: DBFE0E40 3C000002
	v_mfma_f32_16x16x32_fp8_fp8 v[208:211], a[190:191], a[102:103], v[208:211]// 00000000DED0: D3F300D0 1F42CDBE
	v_mfma_f32_16x16x32_fp8_fp8 v[176:179], a[176:177], a[104:105], v[176:179]// 00000000DED8: D3F300B0 1EC2D1B0
	v_mfma_f32_16x16x32_fp8_fp8 v[176:179], a[178:179], a[106:107], v[176:179]// 00000000DEE0: D3F300B0 1EC2D5B2
	v_mfma_f32_16x16x32_fp8_fp8 v[176:179], a[180:181], a[108:109], v[176:179]// 00000000DEE8: D3F300B0 1EC2D9B4
	ds_read_b128 a[64:67], v2 offset:4096                      // 00000000DEF0: DBFE1000 40000002
	ds_read_b128 a[68:71], v2 offset:4160                      // 00000000DEF8: DBFE1040 44000002
	v_mfma_f32_16x16x32_fp8_fp8 v[176:179], a[182:183], a[110:111], v[176:179]// 00000000DF00: D3F300B0 1EC2DDB6
	v_mfma_f32_16x16x32_fp8_fp8 v[212:215], a[184:185], a[104:105], v[212:215]// 00000000DF08: D3F300D4 1F52D1B8
	v_mfma_f32_16x16x32_fp8_fp8 v[212:215], a[186:187], a[106:107], v[212:215]// 00000000DF10: D3F300D4 1F52D5BA
	v_mfma_f32_16x16x32_fp8_fp8 v[212:215], a[188:189], a[108:109], v[212:215]// 00000000DF18: D3F300D4 1F52D9BC
	v_mfma_f32_16x16x32_fp8_fp8 v[212:215], a[190:191], a[110:111], v[212:215]// 00000000DF20: D3F300D4 1F52DDBE
	v_mfma_f32_16x16x32_fp8_fp8 v[180:183], a[176:177], a[112:113], v[180:183]// 00000000DF28: D3F300B4 1ED2E1B0
	v_mfma_f32_16x16x32_fp8_fp8 v[180:183], a[178:179], a[114:115], v[180:183]// 00000000DF30: D3F300B4 1ED2E5B2
	v_mfma_f32_16x16x32_fp8_fp8 v[180:183], a[180:181], a[116:117], v[180:183]// 00000000DF38: D3F300B4 1ED2E9B4
	v_mfma_f32_16x16x32_fp8_fp8 v[180:183], a[182:183], a[118:119], v[180:183]// 00000000DF40: D3F300B4 1ED2EDB6
	v_mfma_f32_16x16x32_fp8_fp8 v[216:219], a[184:185], a[112:113], v[216:219]// 00000000DF48: D3F300D8 1F62E1B8
	v_mfma_f32_16x16x32_fp8_fp8 v[216:219], a[186:187], a[114:115], v[216:219]// 00000000DF50: D3F300D8 1F62E5BA
	v_mfma_f32_16x16x32_fp8_fp8 v[216:219], a[188:189], a[116:117], v[216:219]// 00000000DF58: D3F300D8 1F62E9BC
	v_mfma_f32_16x16x32_fp8_fp8 v[216:219], a[190:191], a[118:119], v[216:219]// 00000000DF60: D3F300D8 1F62EDBE
	v_mfma_f32_16x16x32_fp8_fp8 v[184:187], a[176:177], a[120:121], v[184:187]// 00000000DF68: D3F300B8 1EE2F1B0
	v_mfma_f32_16x16x32_fp8_fp8 v[184:187], a[178:179], a[122:123], v[184:187]// 00000000DF70: D3F300B8 1EE2F5B2
	v_mfma_f32_16x16x32_fp8_fp8 v[184:187], a[180:181], a[124:125], v[184:187]// 00000000DF78: D3F300B8 1EE2F9B4
	v_mfma_f32_16x16x32_fp8_fp8 v[184:187], a[182:183], a[126:127], v[184:187]// 00000000DF80: D3F300B8 1EE2FDB6
	v_mfma_f32_16x16x32_fp8_fp8 v[220:223], a[184:185], a[120:121], v[220:223]// 00000000DF88: D3F300DC 1F72F1B8
	v_mfma_f32_16x16x32_fp8_fp8 v[220:223], a[186:187], a[122:123], v[220:223]// 00000000DF90: D3F300DC 1F72F5BA
	v_mfma_f32_16x16x32_fp8_fp8 v[220:223], a[188:189], a[124:125], v[220:223]// 00000000DF98: D3F300DC 1F72F9BC
	v_mfma_f32_16x16x32_fp8_fp8 v[220:223], a[190:191], a[126:127], v[220:223]// 00000000DFA0: D3F300DC 1F72FDBE
	v_mfma_f32_16x16x32_fp8_fp8 v[188:191], a[176:177], a[128:129], v[188:191]// 00000000DFA8: D3F300BC 1EF301B0
	v_mfma_f32_16x16x32_fp8_fp8 v[188:191], a[178:179], a[130:131], v[188:191]// 00000000DFB0: D3F300BC 1EF305B2
	v_mfma_f32_16x16x32_fp8_fp8 v[188:191], a[180:181], a[132:133], v[188:191]// 00000000DFB8: D3F300BC 1EF309B4
	v_mfma_f32_16x16x32_fp8_fp8 v[188:191], a[182:183], a[134:135], v[188:191]// 00000000DFC0: D3F300BC 1EF30DB6
	v_mfma_f32_16x16x32_fp8_fp8 v[224:227], a[184:185], a[128:129], v[224:227]// 00000000DFC8: D3F300E0 1F8301B8
	v_mfma_f32_16x16x32_fp8_fp8 v[224:227], a[186:187], a[130:131], v[224:227]// 00000000DFD0: D3F300E0 1F8305BA
	v_mfma_f32_16x16x32_fp8_fp8 v[224:227], a[188:189], a[132:133], v[224:227]// 00000000DFD8: D3F300E0 1F8309BC
	v_mfma_f32_16x16x32_fp8_fp8 v[224:227], a[190:191], a[134:135], v[224:227]// 00000000DFE0: D3F300E0 1F830DBE
	v_mfma_f32_16x16x32_fp8_fp8 v[192:195], a[176:177], a[136:137], v[192:195]// 00000000DFE8: D3F300C0 1F0311B0
	s_add_u32 s60, 0x180, s80                                  // 00000000DFF0: 803C50FF 00000180
	s_cmp_lt_u32 s60, s81                                      // 00000000DFF8: BF0A513C
	s_cselect_b32 s57, s57, 0                                  // 00000000DFFC: 85398039
	v_mfma_f32_16x16x32_fp8_fp8 v[192:195], a[178:179], a[138:139], v[192:195]// 00000000E000: D3F300C0 1F0315B2
	s_add_u32 s60, 0x100, s80                                  // 00000000E008: 803C50FF 00000100
	s_cmp_lt_u32 s60, s81                                      // 00000000E010: BF0A513C
	s_cselect_b32 s58, s58, 0                                  // 00000000E014: 853A803A
	v_mfma_f32_16x16x32_fp8_fp8 v[192:195], a[180:181], a[140:141], v[192:195]// 00000000E018: D3F300C0 1F0319B4
	s_add_u32 s60, 0x100, s80                                  // 00000000E020: 803C50FF 00000100
	s_cmp_lt_u32 s60, s81                                      // 00000000E028: BF0A513C
	s_cselect_b32 s83, s83, 0                                  // 00000000E02C: 85538053
	v_mfma_f32_16x16x32_fp8_fp8 v[192:195], a[182:183], a[142:143], v[192:195]// 00000000E030: D3F300C0 1F031DB6
	s_add_u32 s24, s58, s24                                    // 00000000E038: 8018183A
	s_addc_u32 s25, 0, s25                                     // 00000000E03C: 82191980
	v_mfma_f32_16x16x32_fp8_fp8 v[228:231], a[184:185], a[136:137], v[228:231]// 00000000E040: D3F300E4 1F9311B8
	s_add_u32 s20, s57, s20                                    // 00000000E048: 80141439
	s_addc_u32 s21, 0, s21                                     // 00000000E04C: 82151580
	v_mfma_f32_16x16x32_fp8_fp8 v[228:231], a[186:187], a[138:139], v[228:231]// 00000000E050: D3F300E4 1F9315BA
	s_add_u32 s84, s83, s84                                    // 00000000E058: 80545453
	s_addc_u32 s85, 0, s85                                     // 00000000E05C: 82555580
	v_mfma_f32_16x16x32_fp8_fp8 v[228:231], a[188:189], a[140:141], v[228:231]// 00000000E060: D3F300E4 1F9319BC
	v_mfma_f32_16x16x32_fp8_fp8 v[228:231], a[190:191], a[142:143], v[228:231]// 00000000E068: D3F300E4 1F931DBE
	s_addk_i32 s80, 0x80                                       // 00000000E070: B7500080
	s_cmp_lt_i32 s80, s81                                      // 00000000E074: BF045150
	s_cbranch_scc0 label_2DA3                                  // 00000000E078: BF840001
	s_branch label_2370                                        // 00000000E07C: BF82F5CD

000000000000e080 <label_2DA3>:
	v_mul_f32_dpp v88, v24, v88 row_newbcast:0 row_mask:0xf bank_mask:0xf// 00000000E080: 0AB0B0FA FF015018
	v_mul_f32_dpp v89, v24, v89 row_newbcast:1 row_mask:0xf bank_mask:0xf// 00000000E088: 0AB2B2FA FF015118
	v_mul_f32_dpp v90, v24, v90 row_newbcast:2 row_mask:0xf bank_mask:0xf// 00000000E090: 0AB4B4FA FF015218
	v_mul_f32_dpp v91, v24, v91 row_newbcast:3 row_mask:0xf bank_mask:0xf// 00000000E098: 0AB6B6FA FF015318
	v_mul_f32_dpp v92, v24, v92 row_newbcast:0 row_mask:0xf bank_mask:0xf// 00000000E0A0: 0AB8B8FA FF015018
	v_mul_f32_dpp v93, v24, v93 row_newbcast:1 row_mask:0xf bank_mask:0xf// 00000000E0A8: 0ABABAFA FF015118
	v_mul_f32_dpp v94, v24, v94 row_newbcast:2 row_mask:0xf bank_mask:0xf// 00000000E0B0: 0ABCBCFA FF015218
	v_mul_f32_dpp v95, v24, v95 row_newbcast:3 row_mask:0xf bank_mask:0xf// 00000000E0B8: 0ABEBEFA FF015318
	v_mul_f32_dpp v96, v24, v96 row_newbcast:0 row_mask:0xf bank_mask:0xf// 00000000E0C0: 0AC0C0FA FF015018
	v_mul_f32_dpp v97, v24, v97 row_newbcast:1 row_mask:0xf bank_mask:0xf// 00000000E0C8: 0AC2C2FA FF015118
	v_mul_f32_dpp v98, v24, v98 row_newbcast:2 row_mask:0xf bank_mask:0xf// 00000000E0D0: 0AC4C4FA FF015218
	v_mul_f32_dpp v99, v24, v99 row_newbcast:3 row_mask:0xf bank_mask:0xf// 00000000E0D8: 0AC6C6FA FF015318
	v_mul_f32_dpp v100, v24, v100 row_newbcast:0 row_mask:0xf bank_mask:0xf// 00000000E0E0: 0AC8C8FA FF015018
	v_mul_f32_dpp v101, v24, v101 row_newbcast:1 row_mask:0xf bank_mask:0xf// 00000000E0E8: 0ACACAFA FF015118
	v_mul_f32_dpp v102, v24, v102 row_newbcast:2 row_mask:0xf bank_mask:0xf// 00000000E0F0: 0ACCCCFA FF015218
	v_mul_f32_dpp v103, v24, v103 row_newbcast:3 row_mask:0xf bank_mask:0xf// 00000000E0F8: 0ACECEFA FF015318
	v_mul_f32_dpp v104, v24, v104 row_newbcast:0 row_mask:0xf bank_mask:0xf// 00000000E100: 0AD0D0FA FF015018
	v_mul_f32_dpp v105, v24, v105 row_newbcast:1 row_mask:0xf bank_mask:0xf// 00000000E108: 0AD2D2FA FF015118
	v_mul_f32_dpp v106, v24, v106 row_newbcast:2 row_mask:0xf bank_mask:0xf// 00000000E110: 0AD4D4FA FF015218
	v_mul_f32_dpp v107, v24, v107 row_newbcast:3 row_mask:0xf bank_mask:0xf// 00000000E118: 0AD6D6FA FF015318
	v_mul_f32_dpp v108, v24, v108 row_newbcast:0 row_mask:0xf bank_mask:0xf// 00000000E120: 0AD8D8FA FF015018
	v_mul_f32_dpp v109, v24, v109 row_newbcast:1 row_mask:0xf bank_mask:0xf// 00000000E128: 0ADADAFA FF015118
	v_mul_f32_dpp v110, v24, v110 row_newbcast:2 row_mask:0xf bank_mask:0xf// 00000000E130: 0ADCDCFA FF015218
	v_mul_f32_dpp v111, v24, v111 row_newbcast:3 row_mask:0xf bank_mask:0xf// 00000000E138: 0ADEDEFA FF015318
	v_mul_f32_dpp v112, v24, v112 row_newbcast:0 row_mask:0xf bank_mask:0xf// 00000000E140: 0AE0E0FA FF015018
	v_mul_f32_dpp v113, v24, v113 row_newbcast:1 row_mask:0xf bank_mask:0xf// 00000000E148: 0AE2E2FA FF015118
	v_mul_f32_dpp v114, v24, v114 row_newbcast:2 row_mask:0xf bank_mask:0xf// 00000000E150: 0AE4E4FA FF015218
	v_mul_f32_dpp v115, v24, v115 row_newbcast:3 row_mask:0xf bank_mask:0xf// 00000000E158: 0AE6E6FA FF015318
	v_mul_f32_dpp v116, v24, v116 row_newbcast:0 row_mask:0xf bank_mask:0xf// 00000000E160: 0AE8E8FA FF015018
	v_mul_f32_dpp v117, v24, v117 row_newbcast:1 row_mask:0xf bank_mask:0xf// 00000000E168: 0AEAEAFA FF015118
	v_mul_f32_dpp v118, v24, v118 row_newbcast:2 row_mask:0xf bank_mask:0xf// 00000000E170: 0AECECFA FF015218
	v_mul_f32_dpp v119, v24, v119 row_newbcast:3 row_mask:0xf bank_mask:0xf// 00000000E178: 0AEEEEFA FF015318
	v_mul_f32_dpp v120, v24, v120 row_newbcast:0 row_mask:0xf bank_mask:0xf// 00000000E180: 0AF0F0FA FF015018
	v_mul_f32_dpp v121, v24, v121 row_newbcast:1 row_mask:0xf bank_mask:0xf// 00000000E188: 0AF2F2FA FF015118
	v_mul_f32_dpp v122, v24, v122 row_newbcast:2 row_mask:0xf bank_mask:0xf// 00000000E190: 0AF4F4FA FF015218
	v_mul_f32_dpp v123, v24, v123 row_newbcast:3 row_mask:0xf bank_mask:0xf// 00000000E198: 0AF6F6FA FF015318
	v_mul_f32_dpp v124, v24, v124 row_newbcast:4 row_mask:0xf bank_mask:0xf// 00000000E1A0: 0AF8F8FA FF015418
	v_mul_f32_dpp v125, v24, v125 row_newbcast:5 row_mask:0xf bank_mask:0xf// 00000000E1A8: 0AFAFAFA FF015518
	v_mul_f32_dpp v126, v24, v126 row_newbcast:6 row_mask:0xf bank_mask:0xf// 00000000E1B0: 0AFCFCFA FF015618
	v_mul_f32_dpp v127, v24, v127 row_newbcast:7 row_mask:0xf bank_mask:0xf// 00000000E1B8: 0AFEFEFA FF015718
	v_mul_f32_dpp v128, v24, v128 row_newbcast:4 row_mask:0xf bank_mask:0xf// 00000000E1C0: 0B0100FA FF015418
	v_mul_f32_dpp v129, v24, v129 row_newbcast:5 row_mask:0xf bank_mask:0xf// 00000000E1C8: 0B0302FA FF015518
	v_mul_f32_dpp v130, v24, v130 row_newbcast:6 row_mask:0xf bank_mask:0xf// 00000000E1D0: 0B0504FA FF015618
	v_mul_f32_dpp v131, v24, v131 row_newbcast:7 row_mask:0xf bank_mask:0xf// 00000000E1D8: 0B0706FA FF015718
	v_mul_f32_dpp v132, v24, v132 row_newbcast:4 row_mask:0xf bank_mask:0xf// 00000000E1E0: 0B0908FA FF015418
	v_mul_f32_dpp v133, v24, v133 row_newbcast:5 row_mask:0xf bank_mask:0xf// 00000000E1E8: 0B0B0AFA FF015518
	v_mul_f32_dpp v134, v24, v134 row_newbcast:6 row_mask:0xf bank_mask:0xf// 00000000E1F0: 0B0D0CFA FF015618
	v_mul_f32_dpp v135, v24, v135 row_newbcast:7 row_mask:0xf bank_mask:0xf// 00000000E1F8: 0B0F0EFA FF015718
	v_mul_f32_dpp v136, v24, v136 row_newbcast:4 row_mask:0xf bank_mask:0xf// 00000000E200: 0B1110FA FF015418
	v_mul_f32_dpp v137, v24, v137 row_newbcast:5 row_mask:0xf bank_mask:0xf// 00000000E208: 0B1312FA FF015518
	v_mul_f32_dpp v138, v24, v138 row_newbcast:6 row_mask:0xf bank_mask:0xf// 00000000E210: 0B1514FA FF015618
	v_mul_f32_dpp v139, v24, v139 row_newbcast:7 row_mask:0xf bank_mask:0xf// 00000000E218: 0B1716FA FF015718
	v_mul_f32_dpp v140, v24, v140 row_newbcast:4 row_mask:0xf bank_mask:0xf// 00000000E220: 0B1918FA FF015418
	v_mul_f32_dpp v141, v24, v141 row_newbcast:5 row_mask:0xf bank_mask:0xf// 00000000E228: 0B1B1AFA FF015518
	v_mul_f32_dpp v142, v24, v142 row_newbcast:6 row_mask:0xf bank_mask:0xf// 00000000E230: 0B1D1CFA FF015618
	v_mul_f32_dpp v143, v24, v143 row_newbcast:7 row_mask:0xf bank_mask:0xf// 00000000E238: 0B1F1EFA FF015718
	v_mul_f32_dpp v144, v24, v144 row_newbcast:4 row_mask:0xf bank_mask:0xf// 00000000E240: 0B2120FA FF015418
	v_mul_f32_dpp v145, v24, v145 row_newbcast:5 row_mask:0xf bank_mask:0xf// 00000000E248: 0B2322FA FF015518
	v_mul_f32_dpp v146, v24, v146 row_newbcast:6 row_mask:0xf bank_mask:0xf// 00000000E250: 0B2524FA FF015618
	v_mul_f32_dpp v147, v24, v147 row_newbcast:7 row_mask:0xf bank_mask:0xf// 00000000E258: 0B2726FA FF015718
	v_mul_f32_dpp v148, v24, v148 row_newbcast:4 row_mask:0xf bank_mask:0xf// 00000000E260: 0B2928FA FF015418
	v_mul_f32_dpp v149, v24, v149 row_newbcast:5 row_mask:0xf bank_mask:0xf// 00000000E268: 0B2B2AFA FF015518
	v_mul_f32_dpp v150, v24, v150 row_newbcast:6 row_mask:0xf bank_mask:0xf// 00000000E270: 0B2D2CFA FF015618
	v_mul_f32_dpp v151, v24, v151 row_newbcast:7 row_mask:0xf bank_mask:0xf// 00000000E278: 0B2F2EFA FF015718
	v_mul_f32_dpp v152, v24, v152 row_newbcast:4 row_mask:0xf bank_mask:0xf// 00000000E280: 0B3130FA FF015418
	v_mul_f32_dpp v153, v24, v153 row_newbcast:5 row_mask:0xf bank_mask:0xf// 00000000E288: 0B3332FA FF015518
	v_mul_f32_dpp v154, v24, v154 row_newbcast:6 row_mask:0xf bank_mask:0xf// 00000000E290: 0B3534FA FF015618
	v_mul_f32_dpp v155, v24, v155 row_newbcast:7 row_mask:0xf bank_mask:0xf// 00000000E298: 0B3736FA FF015718
	v_mul_f32_dpp v156, v24, v156 row_newbcast:4 row_mask:0xf bank_mask:0xf// 00000000E2A0: 0B3938FA FF015418
	v_mul_f32_dpp v157, v24, v157 row_newbcast:5 row_mask:0xf bank_mask:0xf// 00000000E2A8: 0B3B3AFA FF015518
	v_mul_f32_dpp v158, v24, v158 row_newbcast:6 row_mask:0xf bank_mask:0xf// 00000000E2B0: 0B3D3CFA FF015618
	v_mul_f32_dpp v159, v24, v159 row_newbcast:7 row_mask:0xf bank_mask:0xf// 00000000E2B8: 0B3F3EFA FF015718
	v_mul_f32_dpp v160, v27, v160 row_newbcast:0 row_mask:0xf bank_mask:0xf// 00000000E2C0: 0B4140FA FF01501B
	v_mul_f32_dpp v161, v27, v161 row_newbcast:1 row_mask:0xf bank_mask:0xf// 00000000E2C8: 0B4342FA FF01511B
	v_mul_f32_dpp v162, v27, v162 row_newbcast:2 row_mask:0xf bank_mask:0xf// 00000000E2D0: 0B4544FA FF01521B
	v_mul_f32_dpp v163, v27, v163 row_newbcast:3 row_mask:0xf bank_mask:0xf// 00000000E2D8: 0B4746FA FF01531B
	v_mul_f32_dpp v164, v27, v164 row_newbcast:0 row_mask:0xf bank_mask:0xf// 00000000E2E0: 0B4948FA FF01501B
	v_mul_f32_dpp v165, v27, v165 row_newbcast:1 row_mask:0xf bank_mask:0xf// 00000000E2E8: 0B4B4AFA FF01511B
	v_mul_f32_dpp v166, v27, v166 row_newbcast:2 row_mask:0xf bank_mask:0xf// 00000000E2F0: 0B4D4CFA FF01521B
	v_mul_f32_dpp v167, v27, v167 row_newbcast:3 row_mask:0xf bank_mask:0xf// 00000000E2F8: 0B4F4EFA FF01531B
	v_mul_f32_dpp v168, v27, v168 row_newbcast:0 row_mask:0xf bank_mask:0xf// 00000000E300: 0B5150FA FF01501B
	v_mul_f32_dpp v169, v27, v169 row_newbcast:1 row_mask:0xf bank_mask:0xf// 00000000E308: 0B5352FA FF01511B
	v_mul_f32_dpp v170, v27, v170 row_newbcast:2 row_mask:0xf bank_mask:0xf// 00000000E310: 0B5554FA FF01521B
	v_mul_f32_dpp v171, v27, v171 row_newbcast:3 row_mask:0xf bank_mask:0xf// 00000000E318: 0B5756FA FF01531B
	v_mul_f32_dpp v172, v27, v172 row_newbcast:0 row_mask:0xf bank_mask:0xf// 00000000E320: 0B5958FA FF01501B
	v_mul_f32_dpp v173, v27, v173 row_newbcast:1 row_mask:0xf bank_mask:0xf// 00000000E328: 0B5B5AFA FF01511B
	v_mul_f32_dpp v174, v27, v174 row_newbcast:2 row_mask:0xf bank_mask:0xf// 00000000E330: 0B5D5CFA FF01521B
	v_mul_f32_dpp v175, v27, v175 row_newbcast:3 row_mask:0xf bank_mask:0xf// 00000000E338: 0B5F5EFA FF01531B
	v_mul_f32_dpp v176, v27, v176 row_newbcast:0 row_mask:0xf bank_mask:0xf// 00000000E340: 0B6160FA FF01501B
	v_mul_f32_dpp v177, v27, v177 row_newbcast:1 row_mask:0xf bank_mask:0xf// 00000000E348: 0B6362FA FF01511B
	v_mul_f32_dpp v178, v27, v178 row_newbcast:2 row_mask:0xf bank_mask:0xf// 00000000E350: 0B6564FA FF01521B
	v_mul_f32_dpp v179, v27, v179 row_newbcast:3 row_mask:0xf bank_mask:0xf// 00000000E358: 0B6766FA FF01531B
	v_mul_f32_dpp v180, v27, v180 row_newbcast:0 row_mask:0xf bank_mask:0xf// 00000000E360: 0B6968FA FF01501B
	v_mul_f32_dpp v181, v27, v181 row_newbcast:1 row_mask:0xf bank_mask:0xf// 00000000E368: 0B6B6AFA FF01511B
	v_mul_f32_dpp v182, v27, v182 row_newbcast:2 row_mask:0xf bank_mask:0xf// 00000000E370: 0B6D6CFA FF01521B
	v_mul_f32_dpp v183, v27, v183 row_newbcast:3 row_mask:0xf bank_mask:0xf// 00000000E378: 0B6F6EFA FF01531B
	v_mul_f32_dpp v184, v27, v184 row_newbcast:0 row_mask:0xf bank_mask:0xf// 00000000E380: 0B7170FA FF01501B
	v_mul_f32_dpp v185, v27, v185 row_newbcast:1 row_mask:0xf bank_mask:0xf// 00000000E388: 0B7372FA FF01511B
	v_mul_f32_dpp v186, v27, v186 row_newbcast:2 row_mask:0xf bank_mask:0xf// 00000000E390: 0B7574FA FF01521B
	v_mul_f32_dpp v187, v27, v187 row_newbcast:3 row_mask:0xf bank_mask:0xf// 00000000E398: 0B7776FA FF01531B
	v_mul_f32_dpp v188, v27, v188 row_newbcast:0 row_mask:0xf bank_mask:0xf// 00000000E3A0: 0B7978FA FF01501B
	v_mul_f32_dpp v189, v27, v189 row_newbcast:1 row_mask:0xf bank_mask:0xf// 00000000E3A8: 0B7B7AFA FF01511B
	v_mul_f32_dpp v190, v27, v190 row_newbcast:2 row_mask:0xf bank_mask:0xf// 00000000E3B0: 0B7D7CFA FF01521B
	v_mul_f32_dpp v191, v27, v191 row_newbcast:3 row_mask:0xf bank_mask:0xf// 00000000E3B8: 0B7F7EFA FF01531B
	v_mul_f32_dpp v192, v27, v192 row_newbcast:0 row_mask:0xf bank_mask:0xf// 00000000E3C0: 0B8180FA FF01501B
	v_mul_f32_dpp v193, v27, v193 row_newbcast:1 row_mask:0xf bank_mask:0xf// 00000000E3C8: 0B8382FA FF01511B
	v_mul_f32_dpp v194, v27, v194 row_newbcast:2 row_mask:0xf bank_mask:0xf// 00000000E3D0: 0B8584FA FF01521B
	v_mul_f32_dpp v195, v27, v195 row_newbcast:3 row_mask:0xf bank_mask:0xf// 00000000E3D8: 0B8786FA FF01531B
	v_mul_f32_dpp v196, v27, v196 row_newbcast:4 row_mask:0xf bank_mask:0xf// 00000000E3E0: 0B8988FA FF01541B
	v_mul_f32_dpp v197, v27, v197 row_newbcast:5 row_mask:0xf bank_mask:0xf// 00000000E3E8: 0B8B8AFA FF01551B
	v_mul_f32_dpp v198, v27, v198 row_newbcast:6 row_mask:0xf bank_mask:0xf// 00000000E3F0: 0B8D8CFA FF01561B
	v_mul_f32_dpp v199, v27, v199 row_newbcast:7 row_mask:0xf bank_mask:0xf// 00000000E3F8: 0B8F8EFA FF01571B
	v_mul_f32_dpp v200, v27, v200 row_newbcast:4 row_mask:0xf bank_mask:0xf// 00000000E400: 0B9190FA FF01541B
	v_mul_f32_dpp v201, v27, v201 row_newbcast:5 row_mask:0xf bank_mask:0xf// 00000000E408: 0B9392FA FF01551B
	v_mul_f32_dpp v202, v27, v202 row_newbcast:6 row_mask:0xf bank_mask:0xf// 00000000E410: 0B9594FA FF01561B
	v_mul_f32_dpp v203, v27, v203 row_newbcast:7 row_mask:0xf bank_mask:0xf// 00000000E418: 0B9796FA FF01571B
	v_mul_f32_dpp v204, v27, v204 row_newbcast:4 row_mask:0xf bank_mask:0xf// 00000000E420: 0B9998FA FF01541B
	v_mul_f32_dpp v205, v27, v205 row_newbcast:5 row_mask:0xf bank_mask:0xf// 00000000E428: 0B9B9AFA FF01551B
	v_mul_f32_dpp v206, v27, v206 row_newbcast:6 row_mask:0xf bank_mask:0xf// 00000000E430: 0B9D9CFA FF01561B
	v_mul_f32_dpp v207, v27, v207 row_newbcast:7 row_mask:0xf bank_mask:0xf// 00000000E438: 0B9F9EFA FF01571B
	v_mul_f32_dpp v208, v27, v208 row_newbcast:4 row_mask:0xf bank_mask:0xf// 00000000E440: 0BA1A0FA FF01541B
	v_mul_f32_dpp v209, v27, v209 row_newbcast:5 row_mask:0xf bank_mask:0xf// 00000000E448: 0BA3A2FA FF01551B
	v_mul_f32_dpp v210, v27, v210 row_newbcast:6 row_mask:0xf bank_mask:0xf// 00000000E450: 0BA5A4FA FF01561B
	v_mul_f32_dpp v211, v27, v211 row_newbcast:7 row_mask:0xf bank_mask:0xf// 00000000E458: 0BA7A6FA FF01571B
	v_mul_f32_dpp v212, v27, v212 row_newbcast:4 row_mask:0xf bank_mask:0xf// 00000000E460: 0BA9A8FA FF01541B
	v_mul_f32_dpp v213, v27, v213 row_newbcast:5 row_mask:0xf bank_mask:0xf// 00000000E468: 0BABAAFA FF01551B
	v_mul_f32_dpp v214, v27, v214 row_newbcast:6 row_mask:0xf bank_mask:0xf// 00000000E470: 0BADACFA FF01561B
	v_mul_f32_dpp v215, v27, v215 row_newbcast:7 row_mask:0xf bank_mask:0xf// 00000000E478: 0BAFAEFA FF01571B
	v_mul_f32_dpp v216, v27, v216 row_newbcast:4 row_mask:0xf bank_mask:0xf// 00000000E480: 0BB1B0FA FF01541B
	v_mul_f32_dpp v217, v27, v217 row_newbcast:5 row_mask:0xf bank_mask:0xf// 00000000E488: 0BB3B2FA FF01551B
	v_mul_f32_dpp v218, v27, v218 row_newbcast:6 row_mask:0xf bank_mask:0xf// 00000000E490: 0BB5B4FA FF01561B
	v_mul_f32_dpp v219, v27, v219 row_newbcast:7 row_mask:0xf bank_mask:0xf// 00000000E498: 0BB7B6FA FF01571B
	v_mul_f32_dpp v220, v27, v220 row_newbcast:4 row_mask:0xf bank_mask:0xf// 00000000E4A0: 0BB9B8FA FF01541B
	v_mul_f32_dpp v221, v27, v221 row_newbcast:5 row_mask:0xf bank_mask:0xf// 00000000E4A8: 0BBBBAFA FF01551B
	v_mul_f32_dpp v222, v27, v222 row_newbcast:6 row_mask:0xf bank_mask:0xf// 00000000E4B0: 0BBDBCFA FF01561B
	v_mul_f32_dpp v223, v27, v223 row_newbcast:7 row_mask:0xf bank_mask:0xf// 00000000E4B8: 0BBFBEFA FF01571B
	v_mul_f32_dpp v224, v27, v224 row_newbcast:4 row_mask:0xf bank_mask:0xf// 00000000E4C0: 0BC1C0FA FF01541B
	v_mul_f32_dpp v225, v27, v225 row_newbcast:5 row_mask:0xf bank_mask:0xf// 00000000E4C8: 0BC3C2FA FF01551B
	v_mul_f32_dpp v226, v27, v226 row_newbcast:6 row_mask:0xf bank_mask:0xf// 00000000E4D0: 0BC5C4FA FF01561B
	v_mul_f32_dpp v227, v27, v227 row_newbcast:7 row_mask:0xf bank_mask:0xf// 00000000E4D8: 0BC7C6FA FF01571B
	v_mul_f32_dpp v228, v27, v228 row_newbcast:4 row_mask:0xf bank_mask:0xf// 00000000E4E0: 0BC9C8FA FF01541B
	v_mul_f32_dpp v229, v27, v229 row_newbcast:5 row_mask:0xf bank_mask:0xf// 00000000E4E8: 0BCBCAFA FF01551B
	v_mul_f32_dpp v230, v27, v230 row_newbcast:6 row_mask:0xf bank_mask:0xf// 00000000E4F0: 0BCDCCFA FF01561B
	v_mul_f32_dpp v231, v27, v231 row_newbcast:7 row_mask:0xf bank_mask:0xf// 00000000E4F8: 0BCFCEFA FF01571B
	v_mov_b32_e32 v4, v39                                      // 00000000E500: 7E080327
	v_mov_b32_e32 v5, v4                                       // 00000000E504: 7E0A0304
	v_pk_mul_f32 v[88:89], v[4:5], v[88:89]                    // 00000000E508: D3B14058 1802B104
	v_pk_mul_f32 v[160:161], v[4:5], v[160:161]                // 00000000E510: D3B140A0 18034104
	v_pk_mul_f32 v[90:91], v[4:5], v[90:91]                    // 00000000E518: D3B1405A 1802B504
	v_pk_mul_f32 v[162:163], v[4:5], v[162:163]                // 00000000E520: D3B140A2 18034504
	v_pk_mul_f32 v[124:125], v[4:5], v[124:125]                // 00000000E528: D3B1407C 1802F904
	v_pk_mul_f32 v[196:197], v[4:5], v[196:197]                // 00000000E530: D3B140C4 18038904
	v_pk_mul_f32 v[126:127], v[4:5], v[126:127]                // 00000000E538: D3B1407E 1802FD04
	v_pk_mul_f32 v[198:199], v[4:5], v[198:199]                // 00000000E540: D3B140C6 18038D04
	v_mov_b32_e32 v4, v40                                      // 00000000E548: 7E080328
	v_mov_b32_e32 v5, v4                                       // 00000000E54C: 7E0A0304
	v_pk_mul_f32 v[92:93], v[4:5], v[92:93]                    // 00000000E550: D3B1405C 1802B904
	v_pk_mul_f32 v[164:165], v[4:5], v[164:165]                // 00000000E558: D3B140A4 18034904
	v_pk_mul_f32 v[94:95], v[4:5], v[94:95]                    // 00000000E560: D3B1405E 1802BD04
	v_pk_mul_f32 v[166:167], v[4:5], v[166:167]                // 00000000E568: D3B140A6 18034D04
	v_pk_mul_f32 v[128:129], v[4:5], v[128:129]                // 00000000E570: D3B14080 18030104
	v_pk_mul_f32 v[200:201], v[4:5], v[200:201]                // 00000000E578: D3B140C8 18039104
	v_pk_mul_f32 v[130:131], v[4:5], v[130:131]                // 00000000E580: D3B14082 18030504
	v_pk_mul_f32 v[202:203], v[4:5], v[202:203]                // 00000000E588: D3B140CA 18039504
	v_mov_b32_e32 v4, v41                                      // 00000000E590: 7E080329
	v_mov_b32_e32 v5, v4                                       // 00000000E594: 7E0A0304
	v_pk_mul_f32 v[96:97], v[4:5], v[96:97]                    // 00000000E598: D3B14060 1802C104
	v_pk_mul_f32 v[168:169], v[4:5], v[168:169]                // 00000000E5A0: D3B140A8 18035104
	v_pk_mul_f32 v[98:99], v[4:5], v[98:99]                    // 00000000E5A8: D3B14062 1802C504
	v_pk_mul_f32 v[170:171], v[4:5], v[170:171]                // 00000000E5B0: D3B140AA 18035504
	v_pk_mul_f32 v[132:133], v[4:5], v[132:133]                // 00000000E5B8: D3B14084 18030904
	v_pk_mul_f32 v[204:205], v[4:5], v[204:205]                // 00000000E5C0: D3B140CC 18039904
	v_pk_mul_f32 v[134:135], v[4:5], v[134:135]                // 00000000E5C8: D3B14086 18030D04
	v_pk_mul_f32 v[206:207], v[4:5], v[206:207]                // 00000000E5D0: D3B140CE 18039D04
	v_mov_b32_e32 v4, v42                                      // 00000000E5D8: 7E08032A
	v_mov_b32_e32 v5, v4                                       // 00000000E5DC: 7E0A0304
	v_pk_mul_f32 v[100:101], v[4:5], v[100:101]                // 00000000E5E0: D3B14064 1802C904
	v_pk_mul_f32 v[172:173], v[4:5], v[172:173]                // 00000000E5E8: D3B140AC 18035904
	v_pk_mul_f32 v[102:103], v[4:5], v[102:103]                // 00000000E5F0: D3B14066 1802CD04
	v_pk_mul_f32 v[174:175], v[4:5], v[174:175]                // 00000000E5F8: D3B140AE 18035D04
	v_pk_mul_f32 v[136:137], v[4:5], v[136:137]                // 00000000E600: D3B14088 18031104
	v_pk_mul_f32 v[208:209], v[4:5], v[208:209]                // 00000000E608: D3B140D0 1803A104
	v_pk_mul_f32 v[138:139], v[4:5], v[138:139]                // 00000000E610: D3B1408A 18031504
	v_pk_mul_f32 v[210:211], v[4:5], v[210:211]                // 00000000E618: D3B140D2 1803A504
	v_mov_b32_e32 v4, v43                                      // 00000000E620: 7E08032B
	v_mov_b32_e32 v5, v4                                       // 00000000E624: 7E0A0304
	v_pk_mul_f32 v[104:105], v[4:5], v[104:105]                // 00000000E628: D3B14068 1802D104
	v_pk_mul_f32 v[176:177], v[4:5], v[176:177]                // 00000000E630: D3B140B0 18036104
	v_pk_mul_f32 v[106:107], v[4:5], v[106:107]                // 00000000E638: D3B1406A 1802D504
	v_pk_mul_f32 v[178:179], v[4:5], v[178:179]                // 00000000E640: D3B140B2 18036504
	v_pk_mul_f32 v[140:141], v[4:5], v[140:141]                // 00000000E648: D3B1408C 18031904
	v_pk_mul_f32 v[212:213], v[4:5], v[212:213]                // 00000000E650: D3B140D4 1803A904
	v_pk_mul_f32 v[142:143], v[4:5], v[142:143]                // 00000000E658: D3B1408E 18031D04
	v_pk_mul_f32 v[214:215], v[4:5], v[214:215]                // 00000000E660: D3B140D6 1803AD04
	v_mov_b32_e32 v4, v44                                      // 00000000E668: 7E08032C
	v_mov_b32_e32 v5, v4                                       // 00000000E66C: 7E0A0304
	v_pk_mul_f32 v[108:109], v[4:5], v[108:109]                // 00000000E670: D3B1406C 1802D904
	v_pk_mul_f32 v[180:181], v[4:5], v[180:181]                // 00000000E678: D3B140B4 18036904
	v_pk_mul_f32 v[110:111], v[4:5], v[110:111]                // 00000000E680: D3B1406E 1802DD04
	v_pk_mul_f32 v[182:183], v[4:5], v[182:183]                // 00000000E688: D3B140B6 18036D04
	v_pk_mul_f32 v[144:145], v[4:5], v[144:145]                // 00000000E690: D3B14090 18032104
	v_pk_mul_f32 v[216:217], v[4:5], v[216:217]                // 00000000E698: D3B140D8 1803B104
	v_pk_mul_f32 v[146:147], v[4:5], v[146:147]                // 00000000E6A0: D3B14092 18032504
	v_pk_mul_f32 v[218:219], v[4:5], v[218:219]                // 00000000E6A8: D3B140DA 1803B504
	v_mov_b32_e32 v4, v45                                      // 00000000E6B0: 7E08032D
	v_mov_b32_e32 v5, v4                                       // 00000000E6B4: 7E0A0304
	v_pk_mul_f32 v[112:113], v[4:5], v[112:113]                // 00000000E6B8: D3B14070 1802E104
	v_pk_mul_f32 v[184:185], v[4:5], v[184:185]                // 00000000E6C0: D3B140B8 18037104
	v_pk_mul_f32 v[114:115], v[4:5], v[114:115]                // 00000000E6C8: D3B14072 1802E504
	v_pk_mul_f32 v[186:187], v[4:5], v[186:187]                // 00000000E6D0: D3B140BA 18037504
	v_pk_mul_f32 v[148:149], v[4:5], v[148:149]                // 00000000E6D8: D3B14094 18032904
	v_pk_mul_f32 v[220:221], v[4:5], v[220:221]                // 00000000E6E0: D3B140DC 1803B904
	v_pk_mul_f32 v[150:151], v[4:5], v[150:151]                // 00000000E6E8: D3B14096 18032D04
	v_pk_mul_f32 v[222:223], v[4:5], v[222:223]                // 00000000E6F0: D3B140DE 1803BD04
	v_mov_b32_e32 v4, v46                                      // 00000000E6F8: 7E08032E
	v_mov_b32_e32 v5, v4                                       // 00000000E6FC: 7E0A0304
	v_pk_mul_f32 v[116:117], v[4:5], v[116:117]                // 00000000E700: D3B14074 1802E904
	v_pk_mul_f32 v[188:189], v[4:5], v[188:189]                // 00000000E708: D3B140BC 18037904
	v_pk_mul_f32 v[118:119], v[4:5], v[118:119]                // 00000000E710: D3B14076 1802ED04
	v_pk_mul_f32 v[190:191], v[4:5], v[190:191]                // 00000000E718: D3B140BE 18037D04
	v_pk_mul_f32 v[152:153], v[4:5], v[152:153]                // 00000000E720: D3B14098 18033104
	v_pk_mul_f32 v[224:225], v[4:5], v[224:225]                // 00000000E728: D3B140E0 1803C104
	v_pk_mul_f32 v[154:155], v[4:5], v[154:155]                // 00000000E730: D3B1409A 18033504
	v_pk_mul_f32 v[226:227], v[4:5], v[226:227]                // 00000000E738: D3B140E2 1803C504
	v_mov_b32_e32 v4, v47                                      // 00000000E740: 7E08032F
	v_mov_b32_e32 v5, v4                                       // 00000000E744: 7E0A0304
	v_pk_mul_f32 v[120:121], v[4:5], v[120:121]                // 00000000E748: D3B14078 1802F104
	v_pk_mul_f32 v[192:193], v[4:5], v[192:193]                // 00000000E750: D3B140C0 18038104
	v_pk_mul_f32 v[122:123], v[4:5], v[122:123]                // 00000000E758: D3B1407A 1802F504
	v_pk_mul_f32 v[194:195], v[4:5], v[194:195]                // 00000000E760: D3B140C2 18038504
	v_pk_mul_f32 v[156:157], v[4:5], v[156:157]                // 00000000E768: D3B1409C 18033904
	v_pk_mul_f32 v[228:229], v[4:5], v[228:229]                // 00000000E770: D3B140E4 1803C904
	v_pk_mul_f32 v[158:159], v[4:5], v[158:159]                // 00000000E778: D3B1409E 18033D04
	v_pk_mul_f32 v[230:231], v[4:5], v[230:231]                // 00000000E780: D3B140E6 1803CD04
	s_cmp_eq_u32 s88, 0                                        // 00000000E788: BF068058
	s_cbranch_scc0 label_39F0                                  // 00000000E78C: BF840A89
	s_cmp_eq_u32 s89, 0                                        // 00000000E790: BF068059
	s_cbranch_scc1 label_323E                                  // 00000000E794: BF8502D5
	v_mov_b32_e32 v8, v1                                       // 00000000E798: 7E100301
	v_mov_b32_e32 v9, v1                                       // 00000000E79C: 7E120301
	s_mov_b32 s60, s6                                          // 00000000E7A0: BEBC0006
	s_mov_b32 s61, s6                                          // 00000000E7A4: BEBD0006
	v_pk_mul_f32 v[4:5], v[88:89], v[88:89]                    // 00000000E7A8: D3B14004 1802B158
	v_pk_mul_f32 v[6:7], v[90:91], v[90:91]                    // 00000000E7B0: D3B14006 1802B55A
	v_pk_fma_f32 v[4:5], v[4:5], s[78:79], v[8:9]              // 00000000E7B8: D3B04004 1C209D04
	v_pk_fma_f32 v[6:7], v[6:7], s[78:79], v[8:9]              // 00000000E7C0: D3B04006 1C209D06
	v_pk_mul_f32 v[4:5], v[4:5], v[88:89]                      // 00000000E7C8: D3B14004 1802B104
	v_pk_mul_f32 v[6:7], v[6:7], v[90:91]                      // 00000000E7D0: D3B14006 1802B506
	v_pk_mul_f32 v[4:5], v[4:5], s[60:61]                      // 00000000E7D8: D3B14004 18007904
	v_pk_mul_f32 v[6:7], v[6:7], s[60:61]                      // 00000000E7E0: D3B14006 18007906
	v_exp_f32_e32 v4, v4                                       // 00000000E7E8: 7E084104
	v_exp_f32_e32 v5, v5                                       // 00000000E7EC: 7E0A4105
	v_exp_f32_e32 v6, v6                                       // 00000000E7F0: 7E0C4106
	v_exp_f32_e32 v7, v7                                       // 00000000E7F4: 7E0E4107
	v_add_f32_e64 v4, v4, 1.0                                  // 00000000E7F8: D1010004 0001E504
	v_add_f32_e64 v5, v5, 1.0                                  // 00000000E800: D1010005 0001E505
	v_add_f32_e64 v6, v6, 1.0                                  // 00000000E808: D1010006 0001E506
	v_add_f32_e64 v7, v7, 1.0                                  // 00000000E810: D1010007 0001E507
	v_rcp_f32_e32 v4, v4                                       // 00000000E818: 7E084504
	v_rcp_f32_e32 v5, v5                                       // 00000000E81C: 7E0A4505
	v_rcp_f32_e32 v6, v6                                       // 00000000E820: 7E0C4506
	v_rcp_f32_e32 v7, v7                                       // 00000000E824: 7E0E4507
	v_mul_f32_e32 v88, v88, v4                                 // 00000000E828: 0AB00958
	v_mul_f32_e32 v89, v89, v5                                 // 00000000E82C: 0AB20B59
	v_mul_f32_e32 v90, v90, v6                                 // 00000000E830: 0AB40D5A
	v_mul_f32_e32 v91, v91, v7                                 // 00000000E834: 0AB60F5B
	v_mul_f32_e32 v88, v88, v160                               // 00000000E838: 0AB14158
	v_mul_f32_e32 v89, v89, v161                               // 00000000E83C: 0AB34359
	v_mul_f32_e32 v90, v90, v162                               // 00000000E840: 0AB5455A
	v_mul_f32_e32 v91, v91, v163                               // 00000000E844: 0AB7475B
	v_pk_mul_f32 v[4:5], v[92:93], v[92:93]                    // 00000000E848: D3B14004 1802B95C
	v_pk_mul_f32 v[6:7], v[94:95], v[94:95]                    // 00000000E850: D3B14006 1802BD5E
	v_pk_fma_f32 v[4:5], v[4:5], s[78:79], v[8:9]              // 00000000E858: D3B04004 1C209D04
	v_pk_fma_f32 v[6:7], v[6:7], s[78:79], v[8:9]              // 00000000E860: D3B04006 1C209D06
	v_pk_mul_f32 v[4:5], v[4:5], v[92:93]                      // 00000000E868: D3B14004 1802B904
	v_pk_mul_f32 v[6:7], v[6:7], v[94:95]                      // 00000000E870: D3B14006 1802BD06
	v_pk_mul_f32 v[4:5], v[4:5], s[60:61]                      // 00000000E878: D3B14004 18007904
	v_pk_mul_f32 v[6:7], v[6:7], s[60:61]                      // 00000000E880: D3B14006 18007906
	v_exp_f32_e32 v4, v4                                       // 00000000E888: 7E084104
	v_exp_f32_e32 v5, v5                                       // 00000000E88C: 7E0A4105
	v_exp_f32_e32 v6, v6                                       // 00000000E890: 7E0C4106
	v_exp_f32_e32 v7, v7                                       // 00000000E894: 7E0E4107
	v_add_f32_e64 v4, v4, 1.0                                  // 00000000E898: D1010004 0001E504
	v_add_f32_e64 v5, v5, 1.0                                  // 00000000E8A0: D1010005 0001E505
	v_add_f32_e64 v6, v6, 1.0                                  // 00000000E8A8: D1010006 0001E506
	v_add_f32_e64 v7, v7, 1.0                                  // 00000000E8B0: D1010007 0001E507
	v_rcp_f32_e32 v4, v4                                       // 00000000E8B8: 7E084504
	v_rcp_f32_e32 v5, v5                                       // 00000000E8BC: 7E0A4505
	v_rcp_f32_e32 v6, v6                                       // 00000000E8C0: 7E0C4506
	v_rcp_f32_e32 v7, v7                                       // 00000000E8C4: 7E0E4507
	v_mul_f32_e32 v92, v92, v4                                 // 00000000E8C8: 0AB8095C
	v_mul_f32_e32 v93, v93, v5                                 // 00000000E8CC: 0ABA0B5D
	v_mul_f32_e32 v94, v94, v6                                 // 00000000E8D0: 0ABC0D5E
	v_mul_f32_e32 v95, v95, v7                                 // 00000000E8D4: 0ABE0F5F
	v_mul_f32_e32 v92, v92, v164                               // 00000000E8D8: 0AB9495C
	v_mul_f32_e32 v93, v93, v165                               // 00000000E8DC: 0ABB4B5D
	v_mul_f32_e32 v94, v94, v166                               // 00000000E8E0: 0ABD4D5E
	v_mul_f32_e32 v95, v95, v167                               // 00000000E8E4: 0ABF4F5F
	v_pk_mul_f32 v[4:5], v[96:97], v[96:97]                    // 00000000E8E8: D3B14004 1802C160
	v_pk_mul_f32 v[6:7], v[98:99], v[98:99]                    // 00000000E8F0: D3B14006 1802C562
	v_pk_fma_f32 v[4:5], v[4:5], s[78:79], v[8:9]              // 00000000E8F8: D3B04004 1C209D04
	v_pk_fma_f32 v[6:7], v[6:7], s[78:79], v[8:9]              // 00000000E900: D3B04006 1C209D06
	v_pk_mul_f32 v[4:5], v[4:5], v[96:97]                      // 00000000E908: D3B14004 1802C104
	v_pk_mul_f32 v[6:7], v[6:7], v[98:99]                      // 00000000E910: D3B14006 1802C506
	v_pk_mul_f32 v[4:5], v[4:5], s[60:61]                      // 00000000E918: D3B14004 18007904
	v_pk_mul_f32 v[6:7], v[6:7], s[60:61]                      // 00000000E920: D3B14006 18007906
	v_exp_f32_e32 v4, v4                                       // 00000000E928: 7E084104
	v_exp_f32_e32 v5, v5                                       // 00000000E92C: 7E0A4105
	v_exp_f32_e32 v6, v6                                       // 00000000E930: 7E0C4106
	v_exp_f32_e32 v7, v7                                       // 00000000E934: 7E0E4107
	v_add_f32_e64 v4, v4, 1.0                                  // 00000000E938: D1010004 0001E504
	v_add_f32_e64 v5, v5, 1.0                                  // 00000000E940: D1010005 0001E505
	v_add_f32_e64 v6, v6, 1.0                                  // 00000000E948: D1010006 0001E506
	v_add_f32_e64 v7, v7, 1.0                                  // 00000000E950: D1010007 0001E507
	v_rcp_f32_e32 v4, v4                                       // 00000000E958: 7E084504
	v_rcp_f32_e32 v5, v5                                       // 00000000E95C: 7E0A4505
	v_rcp_f32_e32 v6, v6                                       // 00000000E960: 7E0C4506
	v_rcp_f32_e32 v7, v7                                       // 00000000E964: 7E0E4507
	v_mul_f32_e32 v96, v96, v4                                 // 00000000E968: 0AC00960
	v_mul_f32_e32 v97, v97, v5                                 // 00000000E96C: 0AC20B61
	v_mul_f32_e32 v98, v98, v6                                 // 00000000E970: 0AC40D62
	v_mul_f32_e32 v99, v99, v7                                 // 00000000E974: 0AC60F63
	v_mul_f32_e32 v96, v96, v168                               // 00000000E978: 0AC15160
	v_mul_f32_e32 v97, v97, v169                               // 00000000E97C: 0AC35361
	v_mul_f32_e32 v98, v98, v170                               // 00000000E980: 0AC55562
	v_mul_f32_e32 v99, v99, v171                               // 00000000E984: 0AC75763
	v_pk_mul_f32 v[4:5], v[100:101], v[100:101]                // 00000000E988: D3B14004 1802C964
	v_pk_mul_f32 v[6:7], v[102:103], v[102:103]                // 00000000E990: D3B14006 1802CD66
	v_pk_fma_f32 v[4:5], v[4:5], s[78:79], v[8:9]              // 00000000E998: D3B04004 1C209D04
	v_pk_fma_f32 v[6:7], v[6:7], s[78:79], v[8:9]              // 00000000E9A0: D3B04006 1C209D06
	v_pk_mul_f32 v[4:5], v[4:5], v[100:101]                    // 00000000E9A8: D3B14004 1802C904
	v_pk_mul_f32 v[6:7], v[6:7], v[102:103]                    // 00000000E9B0: D3B14006 1802CD06
	v_pk_mul_f32 v[4:5], v[4:5], s[60:61]                      // 00000000E9B8: D3B14004 18007904
	v_pk_mul_f32 v[6:7], v[6:7], s[60:61]                      // 00000000E9C0: D3B14006 18007906
	v_exp_f32_e32 v4, v4                                       // 00000000E9C8: 7E084104
	v_exp_f32_e32 v5, v5                                       // 00000000E9CC: 7E0A4105
	v_exp_f32_e32 v6, v6                                       // 00000000E9D0: 7E0C4106
	v_exp_f32_e32 v7, v7                                       // 00000000E9D4: 7E0E4107
	v_add_f32_e64 v4, v4, 1.0                                  // 00000000E9D8: D1010004 0001E504
	v_add_f32_e64 v5, v5, 1.0                                  // 00000000E9E0: D1010005 0001E505
	v_add_f32_e64 v6, v6, 1.0                                  // 00000000E9E8: D1010006 0001E506
	v_add_f32_e64 v7, v7, 1.0                                  // 00000000E9F0: D1010007 0001E507
	v_rcp_f32_e32 v4, v4                                       // 00000000E9F8: 7E084504
	v_rcp_f32_e32 v5, v5                                       // 00000000E9FC: 7E0A4505
	v_rcp_f32_e32 v6, v6                                       // 00000000EA00: 7E0C4506
	v_rcp_f32_e32 v7, v7                                       // 00000000EA04: 7E0E4507
	v_mul_f32_e32 v100, v100, v4                               // 00000000EA08: 0AC80964
	v_mul_f32_e32 v101, v101, v5                               // 00000000EA0C: 0ACA0B65
	v_mul_f32_e32 v102, v102, v6                               // 00000000EA10: 0ACC0D66
	v_mul_f32_e32 v103, v103, v7                               // 00000000EA14: 0ACE0F67
	v_mul_f32_e32 v100, v100, v172                             // 00000000EA18: 0AC95964
	v_mul_f32_e32 v101, v101, v173                             // 00000000EA1C: 0ACB5B65
	v_mul_f32_e32 v102, v102, v174                             // 00000000EA20: 0ACD5D66
	v_mul_f32_e32 v103, v103, v175                             // 00000000EA24: 0ACF5F67
	v_pk_mul_f32 v[4:5], v[104:105], v[104:105]                // 00000000EA28: D3B14004 1802D168
	v_pk_mul_f32 v[6:7], v[106:107], v[106:107]                // 00000000EA30: D3B14006 1802D56A
	v_pk_fma_f32 v[4:5], v[4:5], s[78:79], v[8:9]              // 00000000EA38: D3B04004 1C209D04
	v_pk_fma_f32 v[6:7], v[6:7], s[78:79], v[8:9]              // 00000000EA40: D3B04006 1C209D06
	v_pk_mul_f32 v[4:5], v[4:5], v[104:105]                    // 00000000EA48: D3B14004 1802D104
	v_pk_mul_f32 v[6:7], v[6:7], v[106:107]                    // 00000000EA50: D3B14006 1802D506
	v_pk_mul_f32 v[4:5], v[4:5], s[60:61]                      // 00000000EA58: D3B14004 18007904
	v_pk_mul_f32 v[6:7], v[6:7], s[60:61]                      // 00000000EA60: D3B14006 18007906
	v_exp_f32_e32 v4, v4                                       // 00000000EA68: 7E084104
	v_exp_f32_e32 v5, v5                                       // 00000000EA6C: 7E0A4105
	v_exp_f32_e32 v6, v6                                       // 00000000EA70: 7E0C4106
	v_exp_f32_e32 v7, v7                                       // 00000000EA74: 7E0E4107
	v_add_f32_e64 v4, v4, 1.0                                  // 00000000EA78: D1010004 0001E504
	v_add_f32_e64 v5, v5, 1.0                                  // 00000000EA80: D1010005 0001E505
	v_add_f32_e64 v6, v6, 1.0                                  // 00000000EA88: D1010006 0001E506
	v_add_f32_e64 v7, v7, 1.0                                  // 00000000EA90: D1010007 0001E507
	v_rcp_f32_e32 v4, v4                                       // 00000000EA98: 7E084504
	v_rcp_f32_e32 v5, v5                                       // 00000000EA9C: 7E0A4505
	v_rcp_f32_e32 v6, v6                                       // 00000000EAA0: 7E0C4506
	v_rcp_f32_e32 v7, v7                                       // 00000000EAA4: 7E0E4507
	v_mul_f32_e32 v104, v104, v4                               // 00000000EAA8: 0AD00968
	v_mul_f32_e32 v105, v105, v5                               // 00000000EAAC: 0AD20B69
	v_mul_f32_e32 v106, v106, v6                               // 00000000EAB0: 0AD40D6A
	v_mul_f32_e32 v107, v107, v7                               // 00000000EAB4: 0AD60F6B
	v_mul_f32_e32 v104, v104, v176                             // 00000000EAB8: 0AD16168
	v_mul_f32_e32 v105, v105, v177                             // 00000000EABC: 0AD36369
	v_mul_f32_e32 v106, v106, v178                             // 00000000EAC0: 0AD5656A
	v_mul_f32_e32 v107, v107, v179                             // 00000000EAC4: 0AD7676B
	v_pk_mul_f32 v[4:5], v[108:109], v[108:109]                // 00000000EAC8: D3B14004 1802D96C
	v_pk_mul_f32 v[6:7], v[110:111], v[110:111]                // 00000000EAD0: D3B14006 1802DD6E
	v_pk_fma_f32 v[4:5], v[4:5], s[78:79], v[8:9]              // 00000000EAD8: D3B04004 1C209D04
	v_pk_fma_f32 v[6:7], v[6:7], s[78:79], v[8:9]              // 00000000EAE0: D3B04006 1C209D06
	v_pk_mul_f32 v[4:5], v[4:5], v[108:109]                    // 00000000EAE8: D3B14004 1802D904
	v_pk_mul_f32 v[6:7], v[6:7], v[110:111]                    // 00000000EAF0: D3B14006 1802DD06
	v_pk_mul_f32 v[4:5], v[4:5], s[60:61]                      // 00000000EAF8: D3B14004 18007904
	v_pk_mul_f32 v[6:7], v[6:7], s[60:61]                      // 00000000EB00: D3B14006 18007906
	v_exp_f32_e32 v4, v4                                       // 00000000EB08: 7E084104
	v_exp_f32_e32 v5, v5                                       // 00000000EB0C: 7E0A4105
	v_exp_f32_e32 v6, v6                                       // 00000000EB10: 7E0C4106
	v_exp_f32_e32 v7, v7                                       // 00000000EB14: 7E0E4107
	v_add_f32_e64 v4, v4, 1.0                                  // 00000000EB18: D1010004 0001E504
	v_add_f32_e64 v5, v5, 1.0                                  // 00000000EB20: D1010005 0001E505
	v_add_f32_e64 v6, v6, 1.0                                  // 00000000EB28: D1010006 0001E506
	v_add_f32_e64 v7, v7, 1.0                                  // 00000000EB30: D1010007 0001E507
	v_rcp_f32_e32 v4, v4                                       // 00000000EB38: 7E084504
	v_rcp_f32_e32 v5, v5                                       // 00000000EB3C: 7E0A4505
	v_rcp_f32_e32 v6, v6                                       // 00000000EB40: 7E0C4506
	v_rcp_f32_e32 v7, v7                                       // 00000000EB44: 7E0E4507
	v_mul_f32_e32 v108, v108, v4                               // 00000000EB48: 0AD8096C
	v_mul_f32_e32 v109, v109, v5                               // 00000000EB4C: 0ADA0B6D
	v_mul_f32_e32 v110, v110, v6                               // 00000000EB50: 0ADC0D6E
	v_mul_f32_e32 v111, v111, v7                               // 00000000EB54: 0ADE0F6F
	v_mul_f32_e32 v108, v108, v180                             // 00000000EB58: 0AD9696C
	v_mul_f32_e32 v109, v109, v181                             // 00000000EB5C: 0ADB6B6D
	v_mul_f32_e32 v110, v110, v182                             // 00000000EB60: 0ADD6D6E
	v_mul_f32_e32 v111, v111, v183                             // 00000000EB64: 0ADF6F6F
	v_pk_mul_f32 v[4:5], v[112:113], v[112:113]                // 00000000EB68: D3B14004 1802E170
	v_pk_mul_f32 v[6:7], v[114:115], v[114:115]                // 00000000EB70: D3B14006 1802E572
	v_pk_fma_f32 v[4:5], v[4:5], s[78:79], v[8:9]              // 00000000EB78: D3B04004 1C209D04
	v_pk_fma_f32 v[6:7], v[6:7], s[78:79], v[8:9]              // 00000000EB80: D3B04006 1C209D06
	v_pk_mul_f32 v[4:5], v[4:5], v[112:113]                    // 00000000EB88: D3B14004 1802E104
	v_pk_mul_f32 v[6:7], v[6:7], v[114:115]                    // 00000000EB90: D3B14006 1802E506
	v_pk_mul_f32 v[4:5], v[4:5], s[60:61]                      // 00000000EB98: D3B14004 18007904
	v_pk_mul_f32 v[6:7], v[6:7], s[60:61]                      // 00000000EBA0: D3B14006 18007906
	v_exp_f32_e32 v4, v4                                       // 00000000EBA8: 7E084104
	v_exp_f32_e32 v5, v5                                       // 00000000EBAC: 7E0A4105
	v_exp_f32_e32 v6, v6                                       // 00000000EBB0: 7E0C4106
	v_exp_f32_e32 v7, v7                                       // 00000000EBB4: 7E0E4107
	v_add_f32_e64 v4, v4, 1.0                                  // 00000000EBB8: D1010004 0001E504
	v_add_f32_e64 v5, v5, 1.0                                  // 00000000EBC0: D1010005 0001E505
	v_add_f32_e64 v6, v6, 1.0                                  // 00000000EBC8: D1010006 0001E506
	v_add_f32_e64 v7, v7, 1.0                                  // 00000000EBD0: D1010007 0001E507
	v_rcp_f32_e32 v4, v4                                       // 00000000EBD8: 7E084504
	v_rcp_f32_e32 v5, v5                                       // 00000000EBDC: 7E0A4505
	v_rcp_f32_e32 v6, v6                                       // 00000000EBE0: 7E0C4506
	v_rcp_f32_e32 v7, v7                                       // 00000000EBE4: 7E0E4507
	v_mul_f32_e32 v112, v112, v4                               // 00000000EBE8: 0AE00970
	v_mul_f32_e32 v113, v113, v5                               // 00000000EBEC: 0AE20B71
	v_mul_f32_e32 v114, v114, v6                               // 00000000EBF0: 0AE40D72
	v_mul_f32_e32 v115, v115, v7                               // 00000000EBF4: 0AE60F73
	v_mul_f32_e32 v112, v112, v184                             // 00000000EBF8: 0AE17170
	v_mul_f32_e32 v113, v113, v185                             // 00000000EBFC: 0AE37371
	v_mul_f32_e32 v114, v114, v186                             // 00000000EC00: 0AE57572
	v_mul_f32_e32 v115, v115, v187                             // 00000000EC04: 0AE77773
	v_pk_mul_f32 v[4:5], v[116:117], v[116:117]                // 00000000EC08: D3B14004 1802E974
	v_pk_mul_f32 v[6:7], v[118:119], v[118:119]                // 00000000EC10: D3B14006 1802ED76
	v_pk_fma_f32 v[4:5], v[4:5], s[78:79], v[8:9]              // 00000000EC18: D3B04004 1C209D04
	v_pk_fma_f32 v[6:7], v[6:7], s[78:79], v[8:9]              // 00000000EC20: D3B04006 1C209D06
	v_pk_mul_f32 v[4:5], v[4:5], v[116:117]                    // 00000000EC28: D3B14004 1802E904
	v_pk_mul_f32 v[6:7], v[6:7], v[118:119]                    // 00000000EC30: D3B14006 1802ED06
	v_pk_mul_f32 v[4:5], v[4:5], s[60:61]                      // 00000000EC38: D3B14004 18007904
	v_pk_mul_f32 v[6:7], v[6:7], s[60:61]                      // 00000000EC40: D3B14006 18007906
	v_exp_f32_e32 v4, v4                                       // 00000000EC48: 7E084104
	v_exp_f32_e32 v5, v5                                       // 00000000EC4C: 7E0A4105
	v_exp_f32_e32 v6, v6                                       // 00000000EC50: 7E0C4106
	v_exp_f32_e32 v7, v7                                       // 00000000EC54: 7E0E4107
	v_add_f32_e64 v4, v4, 1.0                                  // 00000000EC58: D1010004 0001E504
	v_add_f32_e64 v5, v5, 1.0                                  // 00000000EC60: D1010005 0001E505
	v_add_f32_e64 v6, v6, 1.0                                  // 00000000EC68: D1010006 0001E506
	v_add_f32_e64 v7, v7, 1.0                                  // 00000000EC70: D1010007 0001E507
	v_rcp_f32_e32 v4, v4                                       // 00000000EC78: 7E084504
	v_rcp_f32_e32 v5, v5                                       // 00000000EC7C: 7E0A4505
	v_rcp_f32_e32 v6, v6                                       // 00000000EC80: 7E0C4506
	v_rcp_f32_e32 v7, v7                                       // 00000000EC84: 7E0E4507
	v_mul_f32_e32 v116, v116, v4                               // 00000000EC88: 0AE80974
	v_mul_f32_e32 v117, v117, v5                               // 00000000EC8C: 0AEA0B75
	v_mul_f32_e32 v118, v118, v6                               // 00000000EC90: 0AEC0D76
	v_mul_f32_e32 v119, v119, v7                               // 00000000EC94: 0AEE0F77
	v_mul_f32_e32 v116, v116, v188                             // 00000000EC98: 0AE97974
	v_mul_f32_e32 v117, v117, v189                             // 00000000EC9C: 0AEB7B75
	v_mul_f32_e32 v118, v118, v190                             // 00000000ECA0: 0AED7D76
	v_mul_f32_e32 v119, v119, v191                             // 00000000ECA4: 0AEF7F77
	v_pk_mul_f32 v[4:5], v[120:121], v[120:121]                // 00000000ECA8: D3B14004 1802F178
	v_pk_mul_f32 v[6:7], v[122:123], v[122:123]                // 00000000ECB0: D3B14006 1802F57A
	v_pk_fma_f32 v[4:5], v[4:5], s[78:79], v[8:9]              // 00000000ECB8: D3B04004 1C209D04
	v_pk_fma_f32 v[6:7], v[6:7], s[78:79], v[8:9]              // 00000000ECC0: D3B04006 1C209D06
	v_pk_mul_f32 v[4:5], v[4:5], v[120:121]                    // 00000000ECC8: D3B14004 1802F104
	v_pk_mul_f32 v[6:7], v[6:7], v[122:123]                    // 00000000ECD0: D3B14006 1802F506
	v_pk_mul_f32 v[4:5], v[4:5], s[60:61]                      // 00000000ECD8: D3B14004 18007904
	v_pk_mul_f32 v[6:7], v[6:7], s[60:61]                      // 00000000ECE0: D3B14006 18007906
	v_exp_f32_e32 v4, v4                                       // 00000000ECE8: 7E084104
	v_exp_f32_e32 v5, v5                                       // 00000000ECEC: 7E0A4105
	v_exp_f32_e32 v6, v6                                       // 00000000ECF0: 7E0C4106
	v_exp_f32_e32 v7, v7                                       // 00000000ECF4: 7E0E4107
	v_add_f32_e64 v4, v4, 1.0                                  // 00000000ECF8: D1010004 0001E504
	v_add_f32_e64 v5, v5, 1.0                                  // 00000000ED00: D1010005 0001E505
	v_add_f32_e64 v6, v6, 1.0                                  // 00000000ED08: D1010006 0001E506
	v_add_f32_e64 v7, v7, 1.0                                  // 00000000ED10: D1010007 0001E507
	v_rcp_f32_e32 v4, v4                                       // 00000000ED18: 7E084504
	v_rcp_f32_e32 v5, v5                                       // 00000000ED1C: 7E0A4505
	v_rcp_f32_e32 v6, v6                                       // 00000000ED20: 7E0C4506
	v_rcp_f32_e32 v7, v7                                       // 00000000ED24: 7E0E4507
	v_mul_f32_e32 v120, v120, v4                               // 00000000ED28: 0AF00978
	v_mul_f32_e32 v121, v121, v5                               // 00000000ED2C: 0AF20B79
	v_mul_f32_e32 v122, v122, v6                               // 00000000ED30: 0AF40D7A
	v_mul_f32_e32 v123, v123, v7                               // 00000000ED34: 0AF60F7B
	v_mul_f32_e32 v120, v120, v192                             // 00000000ED38: 0AF18178
	v_mul_f32_e32 v121, v121, v193                             // 00000000ED3C: 0AF38379
	v_mul_f32_e32 v122, v122, v194                             // 00000000ED40: 0AF5857A
	v_mul_f32_e32 v123, v123, v195                             // 00000000ED44: 0AF7877B
	v_pk_mul_f32 v[4:5], v[124:125], v[124:125]                // 00000000ED48: D3B14004 1802F97C
	v_pk_mul_f32 v[6:7], v[126:127], v[126:127]                // 00000000ED50: D3B14006 1802FD7E
	v_pk_fma_f32 v[4:5], v[4:5], s[78:79], v[8:9]              // 00000000ED58: D3B04004 1C209D04
	v_pk_fma_f32 v[6:7], v[6:7], s[78:79], v[8:9]              // 00000000ED60: D3B04006 1C209D06
	v_pk_mul_f32 v[4:5], v[4:5], v[124:125]                    // 00000000ED68: D3B14004 1802F904
	v_pk_mul_f32 v[6:7], v[6:7], v[126:127]                    // 00000000ED70: D3B14006 1802FD06
	v_pk_mul_f32 v[4:5], v[4:5], s[60:61]                      // 00000000ED78: D3B14004 18007904
	v_pk_mul_f32 v[6:7], v[6:7], s[60:61]                      // 00000000ED80: D3B14006 18007906
	v_exp_f32_e32 v4, v4                                       // 00000000ED88: 7E084104
	v_exp_f32_e32 v5, v5                                       // 00000000ED8C: 7E0A4105
	v_exp_f32_e32 v6, v6                                       // 00000000ED90: 7E0C4106
	v_exp_f32_e32 v7, v7                                       // 00000000ED94: 7E0E4107
	v_add_f32_e64 v4, v4, 1.0                                  // 00000000ED98: D1010004 0001E504
	v_add_f32_e64 v5, v5, 1.0                                  // 00000000EDA0: D1010005 0001E505
	v_add_f32_e64 v6, v6, 1.0                                  // 00000000EDA8: D1010006 0001E506
	v_add_f32_e64 v7, v7, 1.0                                  // 00000000EDB0: D1010007 0001E507
	v_rcp_f32_e32 v4, v4                                       // 00000000EDB8: 7E084504
	v_rcp_f32_e32 v5, v5                                       // 00000000EDBC: 7E0A4505
	v_rcp_f32_e32 v6, v6                                       // 00000000EDC0: 7E0C4506
	v_rcp_f32_e32 v7, v7                                       // 00000000EDC4: 7E0E4507
	v_mul_f32_e32 v124, v124, v4                               // 00000000EDC8: 0AF8097C
	v_mul_f32_e32 v125, v125, v5                               // 00000000EDCC: 0AFA0B7D
	v_mul_f32_e32 v126, v126, v6                               // 00000000EDD0: 0AFC0D7E
	v_mul_f32_e32 v127, v127, v7                               // 00000000EDD4: 0AFE0F7F
	v_mul_f32_e32 v124, v124, v196                             // 00000000EDD8: 0AF9897C
	v_mul_f32_e32 v125, v125, v197                             // 00000000EDDC: 0AFB8B7D
	v_mul_f32_e32 v126, v126, v198                             // 00000000EDE0: 0AFD8D7E
	v_mul_f32_e32 v127, v127, v199                             // 00000000EDE4: 0AFF8F7F
	v_pk_mul_f32 v[4:5], v[128:129], v[128:129]                // 00000000EDE8: D3B14004 18030180
	v_pk_mul_f32 v[6:7], v[130:131], v[130:131]                // 00000000EDF0: D3B14006 18030582
	v_pk_fma_f32 v[4:5], v[4:5], s[78:79], v[8:9]              // 00000000EDF8: D3B04004 1C209D04
	v_pk_fma_f32 v[6:7], v[6:7], s[78:79], v[8:9]              // 00000000EE00: D3B04006 1C209D06
	v_pk_mul_f32 v[4:5], v[4:5], v[128:129]                    // 00000000EE08: D3B14004 18030104
	v_pk_mul_f32 v[6:7], v[6:7], v[130:131]                    // 00000000EE10: D3B14006 18030506
	v_pk_mul_f32 v[4:5], v[4:5], s[60:61]                      // 00000000EE18: D3B14004 18007904
	v_pk_mul_f32 v[6:7], v[6:7], s[60:61]                      // 00000000EE20: D3B14006 18007906
	v_exp_f32_e32 v4, v4                                       // 00000000EE28: 7E084104
	v_exp_f32_e32 v5, v5                                       // 00000000EE2C: 7E0A4105
	v_exp_f32_e32 v6, v6                                       // 00000000EE30: 7E0C4106
	v_exp_f32_e32 v7, v7                                       // 00000000EE34: 7E0E4107
	v_add_f32_e64 v4, v4, 1.0                                  // 00000000EE38: D1010004 0001E504
	v_add_f32_e64 v5, v5, 1.0                                  // 00000000EE40: D1010005 0001E505
	v_add_f32_e64 v6, v6, 1.0                                  // 00000000EE48: D1010006 0001E506
	v_add_f32_e64 v7, v7, 1.0                                  // 00000000EE50: D1010007 0001E507
	v_rcp_f32_e32 v4, v4                                       // 00000000EE58: 7E084504
	v_rcp_f32_e32 v5, v5                                       // 00000000EE5C: 7E0A4505
	v_rcp_f32_e32 v6, v6                                       // 00000000EE60: 7E0C4506
	v_rcp_f32_e32 v7, v7                                       // 00000000EE64: 7E0E4507
	v_mul_f32_e32 v128, v128, v4                               // 00000000EE68: 0B000980
	v_mul_f32_e32 v129, v129, v5                               // 00000000EE6C: 0B020B81
	v_mul_f32_e32 v130, v130, v6                               // 00000000EE70: 0B040D82
	v_mul_f32_e32 v131, v131, v7                               // 00000000EE74: 0B060F83
	v_mul_f32_e32 v128, v128, v200                             // 00000000EE78: 0B019180
	v_mul_f32_e32 v129, v129, v201                             // 00000000EE7C: 0B039381
	v_mul_f32_e32 v130, v130, v202                             // 00000000EE80: 0B059582
	v_mul_f32_e32 v131, v131, v203                             // 00000000EE84: 0B079783
	v_pk_mul_f32 v[4:5], v[132:133], v[132:133]                // 00000000EE88: D3B14004 18030984
	v_pk_mul_f32 v[6:7], v[134:135], v[134:135]                // 00000000EE90: D3B14006 18030D86
	v_pk_fma_f32 v[4:5], v[4:5], s[78:79], v[8:9]              // 00000000EE98: D3B04004 1C209D04
	v_pk_fma_f32 v[6:7], v[6:7], s[78:79], v[8:9]              // 00000000EEA0: D3B04006 1C209D06
	v_pk_mul_f32 v[4:5], v[4:5], v[132:133]                    // 00000000EEA8: D3B14004 18030904
	v_pk_mul_f32 v[6:7], v[6:7], v[134:135]                    // 00000000EEB0: D3B14006 18030D06
	v_pk_mul_f32 v[4:5], v[4:5], s[60:61]                      // 00000000EEB8: D3B14004 18007904
	v_pk_mul_f32 v[6:7], v[6:7], s[60:61]                      // 00000000EEC0: D3B14006 18007906
	v_exp_f32_e32 v4, v4                                       // 00000000EEC8: 7E084104
	v_exp_f32_e32 v5, v5                                       // 00000000EECC: 7E0A4105
	v_exp_f32_e32 v6, v6                                       // 00000000EED0: 7E0C4106
	v_exp_f32_e32 v7, v7                                       // 00000000EED4: 7E0E4107
	v_add_f32_e64 v4, v4, 1.0                                  // 00000000EED8: D1010004 0001E504
	v_add_f32_e64 v5, v5, 1.0                                  // 00000000EEE0: D1010005 0001E505
	v_add_f32_e64 v6, v6, 1.0                                  // 00000000EEE8: D1010006 0001E506
	v_add_f32_e64 v7, v7, 1.0                                  // 00000000EEF0: D1010007 0001E507
	v_rcp_f32_e32 v4, v4                                       // 00000000EEF8: 7E084504
	v_rcp_f32_e32 v5, v5                                       // 00000000EEFC: 7E0A4505
	v_rcp_f32_e32 v6, v6                                       // 00000000EF00: 7E0C4506
	v_rcp_f32_e32 v7, v7                                       // 00000000EF04: 7E0E4507
	v_mul_f32_e32 v132, v132, v4                               // 00000000EF08: 0B080984
	v_mul_f32_e32 v133, v133, v5                               // 00000000EF0C: 0B0A0B85
	v_mul_f32_e32 v134, v134, v6                               // 00000000EF10: 0B0C0D86
	v_mul_f32_e32 v135, v135, v7                               // 00000000EF14: 0B0E0F87
	v_mul_f32_e32 v132, v132, v204                             // 00000000EF18: 0B099984
	v_mul_f32_e32 v133, v133, v205                             // 00000000EF1C: 0B0B9B85
	v_mul_f32_e32 v134, v134, v206                             // 00000000EF20: 0B0D9D86
	v_mul_f32_e32 v135, v135, v207                             // 00000000EF24: 0B0F9F87
	v_pk_mul_f32 v[4:5], v[136:137], v[136:137]                // 00000000EF28: D3B14004 18031188
	v_pk_mul_f32 v[6:7], v[138:139], v[138:139]                // 00000000EF30: D3B14006 1803158A
	v_pk_fma_f32 v[4:5], v[4:5], s[78:79], v[8:9]              // 00000000EF38: D3B04004 1C209D04
	v_pk_fma_f32 v[6:7], v[6:7], s[78:79], v[8:9]              // 00000000EF40: D3B04006 1C209D06
	v_pk_mul_f32 v[4:5], v[4:5], v[136:137]                    // 00000000EF48: D3B14004 18031104
	v_pk_mul_f32 v[6:7], v[6:7], v[138:139]                    // 00000000EF50: D3B14006 18031506
	v_pk_mul_f32 v[4:5], v[4:5], s[60:61]                      // 00000000EF58: D3B14004 18007904
	v_pk_mul_f32 v[6:7], v[6:7], s[60:61]                      // 00000000EF60: D3B14006 18007906
	v_exp_f32_e32 v4, v4                                       // 00000000EF68: 7E084104
	v_exp_f32_e32 v5, v5                                       // 00000000EF6C: 7E0A4105
	v_exp_f32_e32 v6, v6                                       // 00000000EF70: 7E0C4106
	v_exp_f32_e32 v7, v7                                       // 00000000EF74: 7E0E4107
	v_add_f32_e64 v4, v4, 1.0                                  // 00000000EF78: D1010004 0001E504
	v_add_f32_e64 v5, v5, 1.0                                  // 00000000EF80: D1010005 0001E505
	v_add_f32_e64 v6, v6, 1.0                                  // 00000000EF88: D1010006 0001E506
	v_add_f32_e64 v7, v7, 1.0                                  // 00000000EF90: D1010007 0001E507
	v_rcp_f32_e32 v4, v4                                       // 00000000EF98: 7E084504
	v_rcp_f32_e32 v5, v5                                       // 00000000EF9C: 7E0A4505
	v_rcp_f32_e32 v6, v6                                       // 00000000EFA0: 7E0C4506
	v_rcp_f32_e32 v7, v7                                       // 00000000EFA4: 7E0E4507
	v_mul_f32_e32 v136, v136, v4                               // 00000000EFA8: 0B100988
	v_mul_f32_e32 v137, v137, v5                               // 00000000EFAC: 0B120B89
	v_mul_f32_e32 v138, v138, v6                               // 00000000EFB0: 0B140D8A
	v_mul_f32_e32 v139, v139, v7                               // 00000000EFB4: 0B160F8B
	v_mul_f32_e32 v136, v136, v208                             // 00000000EFB8: 0B11A188
	v_mul_f32_e32 v137, v137, v209                             // 00000000EFBC: 0B13A389
	v_mul_f32_e32 v138, v138, v210                             // 00000000EFC0: 0B15A58A
	v_mul_f32_e32 v139, v139, v211                             // 00000000EFC4: 0B17A78B
	v_pk_mul_f32 v[4:5], v[140:141], v[140:141]                // 00000000EFC8: D3B14004 1803198C
	v_pk_mul_f32 v[6:7], v[142:143], v[142:143]                // 00000000EFD0: D3B14006 18031D8E
	v_pk_fma_f32 v[4:5], v[4:5], s[78:79], v[8:9]              // 00000000EFD8: D3B04004 1C209D04
	v_pk_fma_f32 v[6:7], v[6:7], s[78:79], v[8:9]              // 00000000EFE0: D3B04006 1C209D06
	v_pk_mul_f32 v[4:5], v[4:5], v[140:141]                    // 00000000EFE8: D3B14004 18031904
	v_pk_mul_f32 v[6:7], v[6:7], v[142:143]                    // 00000000EFF0: D3B14006 18031D06
	v_pk_mul_f32 v[4:5], v[4:5], s[60:61]                      // 00000000EFF8: D3B14004 18007904
	v_pk_mul_f32 v[6:7], v[6:7], s[60:61]                      // 00000000F000: D3B14006 18007906
	v_exp_f32_e32 v4, v4                                       // 00000000F008: 7E084104
	v_exp_f32_e32 v5, v5                                       // 00000000F00C: 7E0A4105
	v_exp_f32_e32 v6, v6                                       // 00000000F010: 7E0C4106
	v_exp_f32_e32 v7, v7                                       // 00000000F014: 7E0E4107
	v_add_f32_e64 v4, v4, 1.0                                  // 00000000F018: D1010004 0001E504
	v_add_f32_e64 v5, v5, 1.0                                  // 00000000F020: D1010005 0001E505
	v_add_f32_e64 v6, v6, 1.0                                  // 00000000F028: D1010006 0001E506
	v_add_f32_e64 v7, v7, 1.0                                  // 00000000F030: D1010007 0001E507
	v_rcp_f32_e32 v4, v4                                       // 00000000F038: 7E084504
	v_rcp_f32_e32 v5, v5                                       // 00000000F03C: 7E0A4505
	v_rcp_f32_e32 v6, v6                                       // 00000000F040: 7E0C4506
	v_rcp_f32_e32 v7, v7                                       // 00000000F044: 7E0E4507
	v_mul_f32_e32 v140, v140, v4                               // 00000000F048: 0B18098C
	v_mul_f32_e32 v141, v141, v5                               // 00000000F04C: 0B1A0B8D
	v_mul_f32_e32 v142, v142, v6                               // 00000000F050: 0B1C0D8E
	v_mul_f32_e32 v143, v143, v7                               // 00000000F054: 0B1E0F8F
	v_mul_f32_e32 v140, v140, v212                             // 00000000F058: 0B19A98C
	v_mul_f32_e32 v141, v141, v213                             // 00000000F05C: 0B1BAB8D
	v_mul_f32_e32 v142, v142, v214                             // 00000000F060: 0B1DAD8E
	v_mul_f32_e32 v143, v143, v215                             // 00000000F064: 0B1FAF8F
	v_pk_mul_f32 v[4:5], v[144:145], v[144:145]                // 00000000F068: D3B14004 18032190
	v_pk_mul_f32 v[6:7], v[146:147], v[146:147]                // 00000000F070: D3B14006 18032592
	v_pk_fma_f32 v[4:5], v[4:5], s[78:79], v[8:9]              // 00000000F078: D3B04004 1C209D04
	v_pk_fma_f32 v[6:7], v[6:7], s[78:79], v[8:9]              // 00000000F080: D3B04006 1C209D06
	v_pk_mul_f32 v[4:5], v[4:5], v[144:145]                    // 00000000F088: D3B14004 18032104
	v_pk_mul_f32 v[6:7], v[6:7], v[146:147]                    // 00000000F090: D3B14006 18032506
	v_pk_mul_f32 v[4:5], v[4:5], s[60:61]                      // 00000000F098: D3B14004 18007904
	v_pk_mul_f32 v[6:7], v[6:7], s[60:61]                      // 00000000F0A0: D3B14006 18007906
	v_exp_f32_e32 v4, v4                                       // 00000000F0A8: 7E084104
	v_exp_f32_e32 v5, v5                                       // 00000000F0AC: 7E0A4105
	v_exp_f32_e32 v6, v6                                       // 00000000F0B0: 7E0C4106
	v_exp_f32_e32 v7, v7                                       // 00000000F0B4: 7E0E4107
	v_add_f32_e64 v4, v4, 1.0                                  // 00000000F0B8: D1010004 0001E504
	v_add_f32_e64 v5, v5, 1.0                                  // 00000000F0C0: D1010005 0001E505
	v_add_f32_e64 v6, v6, 1.0                                  // 00000000F0C8: D1010006 0001E506
	v_add_f32_e64 v7, v7, 1.0                                  // 00000000F0D0: D1010007 0001E507
	v_rcp_f32_e32 v4, v4                                       // 00000000F0D8: 7E084504
	v_rcp_f32_e32 v5, v5                                       // 00000000F0DC: 7E0A4505
	v_rcp_f32_e32 v6, v6                                       // 00000000F0E0: 7E0C4506
	v_rcp_f32_e32 v7, v7                                       // 00000000F0E4: 7E0E4507
	v_mul_f32_e32 v144, v144, v4                               // 00000000F0E8: 0B200990
	v_mul_f32_e32 v145, v145, v5                               // 00000000F0EC: 0B220B91
	v_mul_f32_e32 v146, v146, v6                               // 00000000F0F0: 0B240D92
	v_mul_f32_e32 v147, v147, v7                               // 00000000F0F4: 0B260F93
	v_mul_f32_e32 v144, v144, v216                             // 00000000F0F8: 0B21B190
	v_mul_f32_e32 v145, v145, v217                             // 00000000F0FC: 0B23B391
	v_mul_f32_e32 v146, v146, v218                             // 00000000F100: 0B25B592
	v_mul_f32_e32 v147, v147, v219                             // 00000000F104: 0B27B793
	v_pk_mul_f32 v[4:5], v[148:149], v[148:149]                // 00000000F108: D3B14004 18032994
	v_pk_mul_f32 v[6:7], v[150:151], v[150:151]                // 00000000F110: D3B14006 18032D96
	v_pk_fma_f32 v[4:5], v[4:5], s[78:79], v[8:9]              // 00000000F118: D3B04004 1C209D04
	v_pk_fma_f32 v[6:7], v[6:7], s[78:79], v[8:9]              // 00000000F120: D3B04006 1C209D06
	v_pk_mul_f32 v[4:5], v[4:5], v[148:149]                    // 00000000F128: D3B14004 18032904
	v_pk_mul_f32 v[6:7], v[6:7], v[150:151]                    // 00000000F130: D3B14006 18032D06
	v_pk_mul_f32 v[4:5], v[4:5], s[60:61]                      // 00000000F138: D3B14004 18007904
	v_pk_mul_f32 v[6:7], v[6:7], s[60:61]                      // 00000000F140: D3B14006 18007906
	v_exp_f32_e32 v4, v4                                       // 00000000F148: 7E084104
	v_exp_f32_e32 v5, v5                                       // 00000000F14C: 7E0A4105
	v_exp_f32_e32 v6, v6                                       // 00000000F150: 7E0C4106
	v_exp_f32_e32 v7, v7                                       // 00000000F154: 7E0E4107
	v_add_f32_e64 v4, v4, 1.0                                  // 00000000F158: D1010004 0001E504
	v_add_f32_e64 v5, v5, 1.0                                  // 00000000F160: D1010005 0001E505
	v_add_f32_e64 v6, v6, 1.0                                  // 00000000F168: D1010006 0001E506
	v_add_f32_e64 v7, v7, 1.0                                  // 00000000F170: D1010007 0001E507
	v_rcp_f32_e32 v4, v4                                       // 00000000F178: 7E084504
	v_rcp_f32_e32 v5, v5                                       // 00000000F17C: 7E0A4505
	v_rcp_f32_e32 v6, v6                                       // 00000000F180: 7E0C4506
	v_rcp_f32_e32 v7, v7                                       // 00000000F184: 7E0E4507
	v_mul_f32_e32 v148, v148, v4                               // 00000000F188: 0B280994
	v_mul_f32_e32 v149, v149, v5                               // 00000000F18C: 0B2A0B95
	v_mul_f32_e32 v150, v150, v6                               // 00000000F190: 0B2C0D96
	v_mul_f32_e32 v151, v151, v7                               // 00000000F194: 0B2E0F97
	v_mul_f32_e32 v148, v148, v220                             // 00000000F198: 0B29B994
	v_mul_f32_e32 v149, v149, v221                             // 00000000F19C: 0B2BBB95
	v_mul_f32_e32 v150, v150, v222                             // 00000000F1A0: 0B2DBD96
	v_mul_f32_e32 v151, v151, v223                             // 00000000F1A4: 0B2FBF97
	v_pk_mul_f32 v[4:5], v[152:153], v[152:153]                // 00000000F1A8: D3B14004 18033198
	v_pk_mul_f32 v[6:7], v[154:155], v[154:155]                // 00000000F1B0: D3B14006 1803359A
	v_pk_fma_f32 v[4:5], v[4:5], s[78:79], v[8:9]              // 00000000F1B8: D3B04004 1C209D04
	v_pk_fma_f32 v[6:7], v[6:7], s[78:79], v[8:9]              // 00000000F1C0: D3B04006 1C209D06
	v_pk_mul_f32 v[4:5], v[4:5], v[152:153]                    // 00000000F1C8: D3B14004 18033104
	v_pk_mul_f32 v[6:7], v[6:7], v[154:155]                    // 00000000F1D0: D3B14006 18033506
	v_pk_mul_f32 v[4:5], v[4:5], s[60:61]                      // 00000000F1D8: D3B14004 18007904
	v_pk_mul_f32 v[6:7], v[6:7], s[60:61]                      // 00000000F1E0: D3B14006 18007906
	v_exp_f32_e32 v4, v4                                       // 00000000F1E8: 7E084104
	v_exp_f32_e32 v5, v5                                       // 00000000F1EC: 7E0A4105
	v_exp_f32_e32 v6, v6                                       // 00000000F1F0: 7E0C4106
	v_exp_f32_e32 v7, v7                                       // 00000000F1F4: 7E0E4107
	v_add_f32_e64 v4, v4, 1.0                                  // 00000000F1F8: D1010004 0001E504
	v_add_f32_e64 v5, v5, 1.0                                  // 00000000F200: D1010005 0001E505
	v_add_f32_e64 v6, v6, 1.0                                  // 00000000F208: D1010006 0001E506
	v_add_f32_e64 v7, v7, 1.0                                  // 00000000F210: D1010007 0001E507
	v_rcp_f32_e32 v4, v4                                       // 00000000F218: 7E084504
	v_rcp_f32_e32 v5, v5                                       // 00000000F21C: 7E0A4505
	v_rcp_f32_e32 v6, v6                                       // 00000000F220: 7E0C4506
	v_rcp_f32_e32 v7, v7                                       // 00000000F224: 7E0E4507
	v_mul_f32_e32 v152, v152, v4                               // 00000000F228: 0B300998
	v_mul_f32_e32 v153, v153, v5                               // 00000000F22C: 0B320B99
	v_mul_f32_e32 v154, v154, v6                               // 00000000F230: 0B340D9A
	v_mul_f32_e32 v155, v155, v7                               // 00000000F234: 0B360F9B
	v_mul_f32_e32 v152, v152, v224                             // 00000000F238: 0B31C198
	v_mul_f32_e32 v153, v153, v225                             // 00000000F23C: 0B33C399
	v_mul_f32_e32 v154, v154, v226                             // 00000000F240: 0B35C59A
	v_mul_f32_e32 v155, v155, v227                             // 00000000F244: 0B37C79B
	v_pk_mul_f32 v[4:5], v[156:157], v[156:157]                // 00000000F248: D3B14004 1803399C
	v_pk_mul_f32 v[6:7], v[158:159], v[158:159]                // 00000000F250: D3B14006 18033D9E
	v_pk_fma_f32 v[4:5], v[4:5], s[78:79], v[8:9]              // 00000000F258: D3B04004 1C209D04
	v_pk_fma_f32 v[6:7], v[6:7], s[78:79], v[8:9]              // 00000000F260: D3B04006 1C209D06
	v_pk_mul_f32 v[4:5], v[4:5], v[156:157]                    // 00000000F268: D3B14004 18033904
	v_pk_mul_f32 v[6:7], v[6:7], v[158:159]                    // 00000000F270: D3B14006 18033D06
	v_pk_mul_f32 v[4:5], v[4:5], s[60:61]                      // 00000000F278: D3B14004 18007904
	v_pk_mul_f32 v[6:7], v[6:7], s[60:61]                      // 00000000F280: D3B14006 18007906
	v_exp_f32_e32 v4, v4                                       // 00000000F288: 7E084104
	v_exp_f32_e32 v5, v5                                       // 00000000F28C: 7E0A4105
	v_exp_f32_e32 v6, v6                                       // 00000000F290: 7E0C4106
	v_exp_f32_e32 v7, v7                                       // 00000000F294: 7E0E4107
	v_add_f32_e64 v4, v4, 1.0                                  // 00000000F298: D1010004 0001E504
	v_add_f32_e64 v5, v5, 1.0                                  // 00000000F2A0: D1010005 0001E505
	v_add_f32_e64 v6, v6, 1.0                                  // 00000000F2A8: D1010006 0001E506
	v_add_f32_e64 v7, v7, 1.0                                  // 00000000F2B0: D1010007 0001E507
	v_rcp_f32_e32 v4, v4                                       // 00000000F2B8: 7E084504
	v_rcp_f32_e32 v5, v5                                       // 00000000F2BC: 7E0A4505
	v_rcp_f32_e32 v6, v6                                       // 00000000F2C0: 7E0C4506
	v_rcp_f32_e32 v7, v7                                       // 00000000F2C4: 7E0E4507
	v_mul_f32_e32 v156, v156, v4                               // 00000000F2C8: 0B38099C
	v_mul_f32_e32 v157, v157, v5                               // 00000000F2CC: 0B3A0B9D
	v_mul_f32_e32 v158, v158, v6                               // 00000000F2D0: 0B3C0D9E
	v_mul_f32_e32 v159, v159, v7                               // 00000000F2D4: 0B3E0F9F
	v_mul_f32_e32 v156, v156, v228                             // 00000000F2D8: 0B39C99C
	v_mul_f32_e32 v157, v157, v229                             // 00000000F2DC: 0B3BCB9D
	v_mul_f32_e32 v158, v158, v230                             // 00000000F2E0: 0B3DCD9E
	v_mul_f32_e32 v159, v159, v231                             // 00000000F2E4: 0B3FCF9F
	s_branch label_347E                                        // 00000000F2E8: BF820240

000000000000f2ec <label_323E>:
	v_mul_f32_e64 v4, -v88, s6                                 // 00000000F2EC: D1050004 20000D58
	v_mul_f32_e64 v5, -v89, s6                                 // 00000000F2F4: D1050005 20000D59
	v_mul_f32_e64 v6, -v90, s6                                 // 00000000F2FC: D1050006 20000D5A
	v_mul_f32_e64 v7, -v91, s6                                 // 00000000F304: D1050007 20000D5B
	v_exp_f32_e32 v4, v4                                       // 00000000F30C: 7E084104
	v_exp_f32_e32 v5, v5                                       // 00000000F310: 7E0A4105
	v_exp_f32_e32 v6, v6                                       // 00000000F314: 7E0C4106
	v_exp_f32_e32 v7, v7                                       // 00000000F318: 7E0E4107
	v_add_f32_e64 v4, v4, 1.0                                  // 00000000F31C: D1010004 0001E504
	v_add_f32_e64 v5, v5, 1.0                                  // 00000000F324: D1010005 0001E505
	v_add_f32_e64 v6, v6, 1.0                                  // 00000000F32C: D1010006 0001E506
	v_add_f32_e64 v7, v7, 1.0                                  // 00000000F334: D1010007 0001E507
	v_rcp_f32_e32 v4, v4                                       // 00000000F33C: 7E084504
	v_rcp_f32_e32 v5, v5                                       // 00000000F340: 7E0A4505
	v_rcp_f32_e32 v6, v6                                       // 00000000F344: 7E0C4506
	v_rcp_f32_e32 v7, v7                                       // 00000000F348: 7E0E4507
	v_mul_f32_e32 v88, v88, v4                                 // 00000000F34C: 0AB00958
	v_mul_f32_e32 v89, v89, v5                                 // 00000000F350: 0AB20B59
	v_mul_f32_e32 v90, v90, v6                                 // 00000000F354: 0AB40D5A
	v_mul_f32_e32 v91, v91, v7                                 // 00000000F358: 0AB60F5B
	v_mul_f32_e32 v88, v88, v160                               // 00000000F35C: 0AB14158
	v_mul_f32_e32 v89, v89, v161                               // 00000000F360: 0AB34359
	v_mul_f32_e32 v90, v90, v162                               // 00000000F364: 0AB5455A
	v_mul_f32_e32 v91, v91, v163                               // 00000000F368: 0AB7475B
	v_mul_f32_e64 v4, -v92, s6                                 // 00000000F36C: D1050004 20000D5C
	v_mul_f32_e64 v5, -v93, s6                                 // 00000000F374: D1050005 20000D5D
	v_mul_f32_e64 v6, -v94, s6                                 // 00000000F37C: D1050006 20000D5E
	v_mul_f32_e64 v7, -v95, s6                                 // 00000000F384: D1050007 20000D5F
	v_exp_f32_e32 v4, v4                                       // 00000000F38C: 7E084104
	v_exp_f32_e32 v5, v5                                       // 00000000F390: 7E0A4105
	v_exp_f32_e32 v6, v6                                       // 00000000F394: 7E0C4106
	v_exp_f32_e32 v7, v7                                       // 00000000F398: 7E0E4107
	v_add_f32_e64 v4, v4, 1.0                                  // 00000000F39C: D1010004 0001E504
	v_add_f32_e64 v5, v5, 1.0                                  // 00000000F3A4: D1010005 0001E505
	v_add_f32_e64 v6, v6, 1.0                                  // 00000000F3AC: D1010006 0001E506
	v_add_f32_e64 v7, v7, 1.0                                  // 00000000F3B4: D1010007 0001E507
	v_rcp_f32_e32 v4, v4                                       // 00000000F3BC: 7E084504
	v_rcp_f32_e32 v5, v5                                       // 00000000F3C0: 7E0A4505
	v_rcp_f32_e32 v6, v6                                       // 00000000F3C4: 7E0C4506
	v_rcp_f32_e32 v7, v7                                       // 00000000F3C8: 7E0E4507
	v_mul_f32_e32 v92, v92, v4                                 // 00000000F3CC: 0AB8095C
	v_mul_f32_e32 v93, v93, v5                                 // 00000000F3D0: 0ABA0B5D
	v_mul_f32_e32 v94, v94, v6                                 // 00000000F3D4: 0ABC0D5E
	v_mul_f32_e32 v95, v95, v7                                 // 00000000F3D8: 0ABE0F5F
	v_mul_f32_e32 v92, v92, v164                               // 00000000F3DC: 0AB9495C
	v_mul_f32_e32 v93, v93, v165                               // 00000000F3E0: 0ABB4B5D
	v_mul_f32_e32 v94, v94, v166                               // 00000000F3E4: 0ABD4D5E
	v_mul_f32_e32 v95, v95, v167                               // 00000000F3E8: 0ABF4F5F
	v_mul_f32_e64 v4, -v96, s6                                 // 00000000F3EC: D1050004 20000D60
	v_mul_f32_e64 v5, -v97, s6                                 // 00000000F3F4: D1050005 20000D61
	v_mul_f32_e64 v6, -v98, s6                                 // 00000000F3FC: D1050006 20000D62
	v_mul_f32_e64 v7, -v99, s6                                 // 00000000F404: D1050007 20000D63
	v_exp_f32_e32 v4, v4                                       // 00000000F40C: 7E084104
	v_exp_f32_e32 v5, v5                                       // 00000000F410: 7E0A4105
	v_exp_f32_e32 v6, v6                                       // 00000000F414: 7E0C4106
	v_exp_f32_e32 v7, v7                                       // 00000000F418: 7E0E4107
	v_add_f32_e64 v4, v4, 1.0                                  // 00000000F41C: D1010004 0001E504
	v_add_f32_e64 v5, v5, 1.0                                  // 00000000F424: D1010005 0001E505
	v_add_f32_e64 v6, v6, 1.0                                  // 00000000F42C: D1010006 0001E506
	v_add_f32_e64 v7, v7, 1.0                                  // 00000000F434: D1010007 0001E507
	v_rcp_f32_e32 v4, v4                                       // 00000000F43C: 7E084504
	v_rcp_f32_e32 v5, v5                                       // 00000000F440: 7E0A4505
	v_rcp_f32_e32 v6, v6                                       // 00000000F444: 7E0C4506
	v_rcp_f32_e32 v7, v7                                       // 00000000F448: 7E0E4507
	v_mul_f32_e32 v96, v96, v4                                 // 00000000F44C: 0AC00960
	v_mul_f32_e32 v97, v97, v5                                 // 00000000F450: 0AC20B61
	v_mul_f32_e32 v98, v98, v6                                 // 00000000F454: 0AC40D62
	v_mul_f32_e32 v99, v99, v7                                 // 00000000F458: 0AC60F63
	v_mul_f32_e32 v96, v96, v168                               // 00000000F45C: 0AC15160
	v_mul_f32_e32 v97, v97, v169                               // 00000000F460: 0AC35361
	v_mul_f32_e32 v98, v98, v170                               // 00000000F464: 0AC55562
	v_mul_f32_e32 v99, v99, v171                               // 00000000F468: 0AC75763
	v_mul_f32_e64 v4, -v100, s6                                // 00000000F46C: D1050004 20000D64
	v_mul_f32_e64 v5, -v101, s6                                // 00000000F474: D1050005 20000D65
	v_mul_f32_e64 v6, -v102, s6                                // 00000000F47C: D1050006 20000D66
	v_mul_f32_e64 v7, -v103, s6                                // 00000000F484: D1050007 20000D67
	v_exp_f32_e32 v4, v4                                       // 00000000F48C: 7E084104
	v_exp_f32_e32 v5, v5                                       // 00000000F490: 7E0A4105
	v_exp_f32_e32 v6, v6                                       // 00000000F494: 7E0C4106
	v_exp_f32_e32 v7, v7                                       // 00000000F498: 7E0E4107
	v_add_f32_e64 v4, v4, 1.0                                  // 00000000F49C: D1010004 0001E504
	v_add_f32_e64 v5, v5, 1.0                                  // 00000000F4A4: D1010005 0001E505
	v_add_f32_e64 v6, v6, 1.0                                  // 00000000F4AC: D1010006 0001E506
	v_add_f32_e64 v7, v7, 1.0                                  // 00000000F4B4: D1010007 0001E507
	v_rcp_f32_e32 v4, v4                                       // 00000000F4BC: 7E084504
	v_rcp_f32_e32 v5, v5                                       // 00000000F4C0: 7E0A4505
	v_rcp_f32_e32 v6, v6                                       // 00000000F4C4: 7E0C4506
	v_rcp_f32_e32 v7, v7                                       // 00000000F4C8: 7E0E4507
	v_mul_f32_e32 v100, v100, v4                               // 00000000F4CC: 0AC80964
	v_mul_f32_e32 v101, v101, v5                               // 00000000F4D0: 0ACA0B65
	v_mul_f32_e32 v102, v102, v6                               // 00000000F4D4: 0ACC0D66
	v_mul_f32_e32 v103, v103, v7                               // 00000000F4D8: 0ACE0F67
	v_mul_f32_e32 v100, v100, v172                             // 00000000F4DC: 0AC95964
	v_mul_f32_e32 v101, v101, v173                             // 00000000F4E0: 0ACB5B65
	v_mul_f32_e32 v102, v102, v174                             // 00000000F4E4: 0ACD5D66
	v_mul_f32_e32 v103, v103, v175                             // 00000000F4E8: 0ACF5F67
	v_mul_f32_e64 v4, -v104, s6                                // 00000000F4EC: D1050004 20000D68
	v_mul_f32_e64 v5, -v105, s6                                // 00000000F4F4: D1050005 20000D69
	v_mul_f32_e64 v6, -v106, s6                                // 00000000F4FC: D1050006 20000D6A
	v_mul_f32_e64 v7, -v107, s6                                // 00000000F504: D1050007 20000D6B
	v_exp_f32_e32 v4, v4                                       // 00000000F50C: 7E084104
	v_exp_f32_e32 v5, v5                                       // 00000000F510: 7E0A4105
	v_exp_f32_e32 v6, v6                                       // 00000000F514: 7E0C4106
	v_exp_f32_e32 v7, v7                                       // 00000000F518: 7E0E4107
	v_add_f32_e64 v4, v4, 1.0                                  // 00000000F51C: D1010004 0001E504
	v_add_f32_e64 v5, v5, 1.0                                  // 00000000F524: D1010005 0001E505
	v_add_f32_e64 v6, v6, 1.0                                  // 00000000F52C: D1010006 0001E506
	v_add_f32_e64 v7, v7, 1.0                                  // 00000000F534: D1010007 0001E507
	v_rcp_f32_e32 v4, v4                                       // 00000000F53C: 7E084504
	v_rcp_f32_e32 v5, v5                                       // 00000000F540: 7E0A4505
	v_rcp_f32_e32 v6, v6                                       // 00000000F544: 7E0C4506
	v_rcp_f32_e32 v7, v7                                       // 00000000F548: 7E0E4507
	v_mul_f32_e32 v104, v104, v4                               // 00000000F54C: 0AD00968
	v_mul_f32_e32 v105, v105, v5                               // 00000000F550: 0AD20B69
	v_mul_f32_e32 v106, v106, v6                               // 00000000F554: 0AD40D6A
	v_mul_f32_e32 v107, v107, v7                               // 00000000F558: 0AD60F6B
	v_mul_f32_e32 v104, v104, v176                             // 00000000F55C: 0AD16168
	v_mul_f32_e32 v105, v105, v177                             // 00000000F560: 0AD36369
	v_mul_f32_e32 v106, v106, v178                             // 00000000F564: 0AD5656A
	v_mul_f32_e32 v107, v107, v179                             // 00000000F568: 0AD7676B
	v_mul_f32_e64 v4, -v108, s6                                // 00000000F56C: D1050004 20000D6C
	v_mul_f32_e64 v5, -v109, s6                                // 00000000F574: D1050005 20000D6D
	v_mul_f32_e64 v6, -v110, s6                                // 00000000F57C: D1050006 20000D6E
	v_mul_f32_e64 v7, -v111, s6                                // 00000000F584: D1050007 20000D6F
	v_exp_f32_e32 v4, v4                                       // 00000000F58C: 7E084104
	v_exp_f32_e32 v5, v5                                       // 00000000F590: 7E0A4105
	v_exp_f32_e32 v6, v6                                       // 00000000F594: 7E0C4106
	v_exp_f32_e32 v7, v7                                       // 00000000F598: 7E0E4107
	v_add_f32_e64 v4, v4, 1.0                                  // 00000000F59C: D1010004 0001E504
	v_add_f32_e64 v5, v5, 1.0                                  // 00000000F5A4: D1010005 0001E505
	v_add_f32_e64 v6, v6, 1.0                                  // 00000000F5AC: D1010006 0001E506
	v_add_f32_e64 v7, v7, 1.0                                  // 00000000F5B4: D1010007 0001E507
	v_rcp_f32_e32 v4, v4                                       // 00000000F5BC: 7E084504
	v_rcp_f32_e32 v5, v5                                       // 00000000F5C0: 7E0A4505
	v_rcp_f32_e32 v6, v6                                       // 00000000F5C4: 7E0C4506
	v_rcp_f32_e32 v7, v7                                       // 00000000F5C8: 7E0E4507
	v_mul_f32_e32 v108, v108, v4                               // 00000000F5CC: 0AD8096C
	v_mul_f32_e32 v109, v109, v5                               // 00000000F5D0: 0ADA0B6D
	v_mul_f32_e32 v110, v110, v6                               // 00000000F5D4: 0ADC0D6E
	v_mul_f32_e32 v111, v111, v7                               // 00000000F5D8: 0ADE0F6F
	v_mul_f32_e32 v108, v108, v180                             // 00000000F5DC: 0AD9696C
	v_mul_f32_e32 v109, v109, v181                             // 00000000F5E0: 0ADB6B6D
	v_mul_f32_e32 v110, v110, v182                             // 00000000F5E4: 0ADD6D6E
	v_mul_f32_e32 v111, v111, v183                             // 00000000F5E8: 0ADF6F6F
	v_mul_f32_e64 v4, -v112, s6                                // 00000000F5EC: D1050004 20000D70
	v_mul_f32_e64 v5, -v113, s6                                // 00000000F5F4: D1050005 20000D71
	v_mul_f32_e64 v6, -v114, s6                                // 00000000F5FC: D1050006 20000D72
	v_mul_f32_e64 v7, -v115, s6                                // 00000000F604: D1050007 20000D73
	v_exp_f32_e32 v4, v4                                       // 00000000F60C: 7E084104
	v_exp_f32_e32 v5, v5                                       // 00000000F610: 7E0A4105
	v_exp_f32_e32 v6, v6                                       // 00000000F614: 7E0C4106
	v_exp_f32_e32 v7, v7                                       // 00000000F618: 7E0E4107
	v_add_f32_e64 v4, v4, 1.0                                  // 00000000F61C: D1010004 0001E504
	v_add_f32_e64 v5, v5, 1.0                                  // 00000000F624: D1010005 0001E505
	v_add_f32_e64 v6, v6, 1.0                                  // 00000000F62C: D1010006 0001E506
	v_add_f32_e64 v7, v7, 1.0                                  // 00000000F634: D1010007 0001E507
	v_rcp_f32_e32 v4, v4                                       // 00000000F63C: 7E084504
	v_rcp_f32_e32 v5, v5                                       // 00000000F640: 7E0A4505
	v_rcp_f32_e32 v6, v6                                       // 00000000F644: 7E0C4506
	v_rcp_f32_e32 v7, v7                                       // 00000000F648: 7E0E4507
	v_mul_f32_e32 v112, v112, v4                               // 00000000F64C: 0AE00970
	v_mul_f32_e32 v113, v113, v5                               // 00000000F650: 0AE20B71
	v_mul_f32_e32 v114, v114, v6                               // 00000000F654: 0AE40D72
	v_mul_f32_e32 v115, v115, v7                               // 00000000F658: 0AE60F73
	v_mul_f32_e32 v112, v112, v184                             // 00000000F65C: 0AE17170
	v_mul_f32_e32 v113, v113, v185                             // 00000000F660: 0AE37371
	v_mul_f32_e32 v114, v114, v186                             // 00000000F664: 0AE57572
	v_mul_f32_e32 v115, v115, v187                             // 00000000F668: 0AE77773
	v_mul_f32_e64 v4, -v116, s6                                // 00000000F66C: D1050004 20000D74
	v_mul_f32_e64 v5, -v117, s6                                // 00000000F674: D1050005 20000D75
	v_mul_f32_e64 v6, -v118, s6                                // 00000000F67C: D1050006 20000D76
	v_mul_f32_e64 v7, -v119, s6                                // 00000000F684: D1050007 20000D77
	v_exp_f32_e32 v4, v4                                       // 00000000F68C: 7E084104
	v_exp_f32_e32 v5, v5                                       // 00000000F690: 7E0A4105
	v_exp_f32_e32 v6, v6                                       // 00000000F694: 7E0C4106
	v_exp_f32_e32 v7, v7                                       // 00000000F698: 7E0E4107
	v_add_f32_e64 v4, v4, 1.0                                  // 00000000F69C: D1010004 0001E504
	v_add_f32_e64 v5, v5, 1.0                                  // 00000000F6A4: D1010005 0001E505
	v_add_f32_e64 v6, v6, 1.0                                  // 00000000F6AC: D1010006 0001E506
	v_add_f32_e64 v7, v7, 1.0                                  // 00000000F6B4: D1010007 0001E507
	v_rcp_f32_e32 v4, v4                                       // 00000000F6BC: 7E084504
	v_rcp_f32_e32 v5, v5                                       // 00000000F6C0: 7E0A4505
	v_rcp_f32_e32 v6, v6                                       // 00000000F6C4: 7E0C4506
	v_rcp_f32_e32 v7, v7                                       // 00000000F6C8: 7E0E4507
	v_mul_f32_e32 v116, v116, v4                               // 00000000F6CC: 0AE80974
	v_mul_f32_e32 v117, v117, v5                               // 00000000F6D0: 0AEA0B75
	v_mul_f32_e32 v118, v118, v6                               // 00000000F6D4: 0AEC0D76
	v_mul_f32_e32 v119, v119, v7                               // 00000000F6D8: 0AEE0F77
	v_mul_f32_e32 v116, v116, v188                             // 00000000F6DC: 0AE97974
	v_mul_f32_e32 v117, v117, v189                             // 00000000F6E0: 0AEB7B75
	v_mul_f32_e32 v118, v118, v190                             // 00000000F6E4: 0AED7D76
	v_mul_f32_e32 v119, v119, v191                             // 00000000F6E8: 0AEF7F77
	v_mul_f32_e64 v4, -v120, s6                                // 00000000F6EC: D1050004 20000D78
	v_mul_f32_e64 v5, -v121, s6                                // 00000000F6F4: D1050005 20000D79
	v_mul_f32_e64 v6, -v122, s6                                // 00000000F6FC: D1050006 20000D7A
	v_mul_f32_e64 v7, -v123, s6                                // 00000000F704: D1050007 20000D7B
	v_exp_f32_e32 v4, v4                                       // 00000000F70C: 7E084104
	v_exp_f32_e32 v5, v5                                       // 00000000F710: 7E0A4105
	v_exp_f32_e32 v6, v6                                       // 00000000F714: 7E0C4106
	v_exp_f32_e32 v7, v7                                       // 00000000F718: 7E0E4107
	v_add_f32_e64 v4, v4, 1.0                                  // 00000000F71C: D1010004 0001E504
	v_add_f32_e64 v5, v5, 1.0                                  // 00000000F724: D1010005 0001E505
	v_add_f32_e64 v6, v6, 1.0                                  // 00000000F72C: D1010006 0001E506
	v_add_f32_e64 v7, v7, 1.0                                  // 00000000F734: D1010007 0001E507
	v_rcp_f32_e32 v4, v4                                       // 00000000F73C: 7E084504
	v_rcp_f32_e32 v5, v5                                       // 00000000F740: 7E0A4505
	v_rcp_f32_e32 v6, v6                                       // 00000000F744: 7E0C4506
	v_rcp_f32_e32 v7, v7                                       // 00000000F748: 7E0E4507
	v_mul_f32_e32 v120, v120, v4                               // 00000000F74C: 0AF00978
	v_mul_f32_e32 v121, v121, v5                               // 00000000F750: 0AF20B79
	v_mul_f32_e32 v122, v122, v6                               // 00000000F754: 0AF40D7A
	v_mul_f32_e32 v123, v123, v7                               // 00000000F758: 0AF60F7B
	v_mul_f32_e32 v120, v120, v192                             // 00000000F75C: 0AF18178
	v_mul_f32_e32 v121, v121, v193                             // 00000000F760: 0AF38379
	v_mul_f32_e32 v122, v122, v194                             // 00000000F764: 0AF5857A
	v_mul_f32_e32 v123, v123, v195                             // 00000000F768: 0AF7877B
	v_mul_f32_e64 v4, -v124, s6                                // 00000000F76C: D1050004 20000D7C
	v_mul_f32_e64 v5, -v125, s6                                // 00000000F774: D1050005 20000D7D
	v_mul_f32_e64 v6, -v126, s6                                // 00000000F77C: D1050006 20000D7E
	v_mul_f32_e64 v7, -v127, s6                                // 00000000F784: D1050007 20000D7F
	v_exp_f32_e32 v4, v4                                       // 00000000F78C: 7E084104
	v_exp_f32_e32 v5, v5                                       // 00000000F790: 7E0A4105
	v_exp_f32_e32 v6, v6                                       // 00000000F794: 7E0C4106
	v_exp_f32_e32 v7, v7                                       // 00000000F798: 7E0E4107
	v_add_f32_e64 v4, v4, 1.0                                  // 00000000F79C: D1010004 0001E504
	v_add_f32_e64 v5, v5, 1.0                                  // 00000000F7A4: D1010005 0001E505
	v_add_f32_e64 v6, v6, 1.0                                  // 00000000F7AC: D1010006 0001E506
	v_add_f32_e64 v7, v7, 1.0                                  // 00000000F7B4: D1010007 0001E507
	v_rcp_f32_e32 v4, v4                                       // 00000000F7BC: 7E084504
	v_rcp_f32_e32 v5, v5                                       // 00000000F7C0: 7E0A4505
	v_rcp_f32_e32 v6, v6                                       // 00000000F7C4: 7E0C4506
	v_rcp_f32_e32 v7, v7                                       // 00000000F7C8: 7E0E4507
	v_mul_f32_e32 v124, v124, v4                               // 00000000F7CC: 0AF8097C
	v_mul_f32_e32 v125, v125, v5                               // 00000000F7D0: 0AFA0B7D
	v_mul_f32_e32 v126, v126, v6                               // 00000000F7D4: 0AFC0D7E
	v_mul_f32_e32 v127, v127, v7                               // 00000000F7D8: 0AFE0F7F
	v_mul_f32_e32 v124, v124, v196                             // 00000000F7DC: 0AF9897C
	v_mul_f32_e32 v125, v125, v197                             // 00000000F7E0: 0AFB8B7D
	v_mul_f32_e32 v126, v126, v198                             // 00000000F7E4: 0AFD8D7E
	v_mul_f32_e32 v127, v127, v199                             // 00000000F7E8: 0AFF8F7F
	v_mul_f32_e64 v4, -v128, s6                                // 00000000F7EC: D1050004 20000D80
	v_mul_f32_e64 v5, -v129, s6                                // 00000000F7F4: D1050005 20000D81
	v_mul_f32_e64 v6, -v130, s6                                // 00000000F7FC: D1050006 20000D82
	v_mul_f32_e64 v7, -v131, s6                                // 00000000F804: D1050007 20000D83
	v_exp_f32_e32 v4, v4                                       // 00000000F80C: 7E084104
	v_exp_f32_e32 v5, v5                                       // 00000000F810: 7E0A4105
	v_exp_f32_e32 v6, v6                                       // 00000000F814: 7E0C4106
	v_exp_f32_e32 v7, v7                                       // 00000000F818: 7E0E4107
	v_add_f32_e64 v4, v4, 1.0                                  // 00000000F81C: D1010004 0001E504
	v_add_f32_e64 v5, v5, 1.0                                  // 00000000F824: D1010005 0001E505
	v_add_f32_e64 v6, v6, 1.0                                  // 00000000F82C: D1010006 0001E506
	v_add_f32_e64 v7, v7, 1.0                                  // 00000000F834: D1010007 0001E507
	v_rcp_f32_e32 v4, v4                                       // 00000000F83C: 7E084504
	v_rcp_f32_e32 v5, v5                                       // 00000000F840: 7E0A4505
	v_rcp_f32_e32 v6, v6                                       // 00000000F844: 7E0C4506
	v_rcp_f32_e32 v7, v7                                       // 00000000F848: 7E0E4507
	v_mul_f32_e32 v128, v128, v4                               // 00000000F84C: 0B000980
	v_mul_f32_e32 v129, v129, v5                               // 00000000F850: 0B020B81
	v_mul_f32_e32 v130, v130, v6                               // 00000000F854: 0B040D82
	v_mul_f32_e32 v131, v131, v7                               // 00000000F858: 0B060F83
	v_mul_f32_e32 v128, v128, v200                             // 00000000F85C: 0B019180
	v_mul_f32_e32 v129, v129, v201                             // 00000000F860: 0B039381
	v_mul_f32_e32 v130, v130, v202                             // 00000000F864: 0B059582
	v_mul_f32_e32 v131, v131, v203                             // 00000000F868: 0B079783
	v_mul_f32_e64 v4, -v132, s6                                // 00000000F86C: D1050004 20000D84
	v_mul_f32_e64 v5, -v133, s6                                // 00000000F874: D1050005 20000D85
	v_mul_f32_e64 v6, -v134, s6                                // 00000000F87C: D1050006 20000D86
	v_mul_f32_e64 v7, -v135, s6                                // 00000000F884: D1050007 20000D87
	v_exp_f32_e32 v4, v4                                       // 00000000F88C: 7E084104
	v_exp_f32_e32 v5, v5                                       // 00000000F890: 7E0A4105
	v_exp_f32_e32 v6, v6                                       // 00000000F894: 7E0C4106
	v_exp_f32_e32 v7, v7                                       // 00000000F898: 7E0E4107
	v_add_f32_e64 v4, v4, 1.0                                  // 00000000F89C: D1010004 0001E504
	v_add_f32_e64 v5, v5, 1.0                                  // 00000000F8A4: D1010005 0001E505
	v_add_f32_e64 v6, v6, 1.0                                  // 00000000F8AC: D1010006 0001E506
	v_add_f32_e64 v7, v7, 1.0                                  // 00000000F8B4: D1010007 0001E507
	v_rcp_f32_e32 v4, v4                                       // 00000000F8BC: 7E084504
	v_rcp_f32_e32 v5, v5                                       // 00000000F8C0: 7E0A4505
	v_rcp_f32_e32 v6, v6                                       // 00000000F8C4: 7E0C4506
	v_rcp_f32_e32 v7, v7                                       // 00000000F8C8: 7E0E4507
	v_mul_f32_e32 v132, v132, v4                               // 00000000F8CC: 0B080984
	v_mul_f32_e32 v133, v133, v5                               // 00000000F8D0: 0B0A0B85
	v_mul_f32_e32 v134, v134, v6                               // 00000000F8D4: 0B0C0D86
	v_mul_f32_e32 v135, v135, v7                               // 00000000F8D8: 0B0E0F87
	v_mul_f32_e32 v132, v132, v204                             // 00000000F8DC: 0B099984
	v_mul_f32_e32 v133, v133, v205                             // 00000000F8E0: 0B0B9B85
	v_mul_f32_e32 v134, v134, v206                             // 00000000F8E4: 0B0D9D86
	v_mul_f32_e32 v135, v135, v207                             // 00000000F8E8: 0B0F9F87
	v_mul_f32_e64 v4, -v136, s6                                // 00000000F8EC: D1050004 20000D88
	v_mul_f32_e64 v5, -v137, s6                                // 00000000F8F4: D1050005 20000D89
	v_mul_f32_e64 v6, -v138, s6                                // 00000000F8FC: D1050006 20000D8A
	v_mul_f32_e64 v7, -v139, s6                                // 00000000F904: D1050007 20000D8B
	v_exp_f32_e32 v4, v4                                       // 00000000F90C: 7E084104
	v_exp_f32_e32 v5, v5                                       // 00000000F910: 7E0A4105
	v_exp_f32_e32 v6, v6                                       // 00000000F914: 7E0C4106
	v_exp_f32_e32 v7, v7                                       // 00000000F918: 7E0E4107
	v_add_f32_e64 v4, v4, 1.0                                  // 00000000F91C: D1010004 0001E504
	v_add_f32_e64 v5, v5, 1.0                                  // 00000000F924: D1010005 0001E505
	v_add_f32_e64 v6, v6, 1.0                                  // 00000000F92C: D1010006 0001E506
	v_add_f32_e64 v7, v7, 1.0                                  // 00000000F934: D1010007 0001E507
	v_rcp_f32_e32 v4, v4                                       // 00000000F93C: 7E084504
	v_rcp_f32_e32 v5, v5                                       // 00000000F940: 7E0A4505
	v_rcp_f32_e32 v6, v6                                       // 00000000F944: 7E0C4506
	v_rcp_f32_e32 v7, v7                                       // 00000000F948: 7E0E4507
	v_mul_f32_e32 v136, v136, v4                               // 00000000F94C: 0B100988
	v_mul_f32_e32 v137, v137, v5                               // 00000000F950: 0B120B89
	v_mul_f32_e32 v138, v138, v6                               // 00000000F954: 0B140D8A
	v_mul_f32_e32 v139, v139, v7                               // 00000000F958: 0B160F8B
	v_mul_f32_e32 v136, v136, v208                             // 00000000F95C: 0B11A188
	v_mul_f32_e32 v137, v137, v209                             // 00000000F960: 0B13A389
	v_mul_f32_e32 v138, v138, v210                             // 00000000F964: 0B15A58A
	v_mul_f32_e32 v139, v139, v211                             // 00000000F968: 0B17A78B
	v_mul_f32_e64 v4, -v140, s6                                // 00000000F96C: D1050004 20000D8C
	v_mul_f32_e64 v5, -v141, s6                                // 00000000F974: D1050005 20000D8D
	v_mul_f32_e64 v6, -v142, s6                                // 00000000F97C: D1050006 20000D8E
	v_mul_f32_e64 v7, -v143, s6                                // 00000000F984: D1050007 20000D8F
	v_exp_f32_e32 v4, v4                                       // 00000000F98C: 7E084104
	v_exp_f32_e32 v5, v5                                       // 00000000F990: 7E0A4105
	v_exp_f32_e32 v6, v6                                       // 00000000F994: 7E0C4106
	v_exp_f32_e32 v7, v7                                       // 00000000F998: 7E0E4107
	v_add_f32_e64 v4, v4, 1.0                                  // 00000000F99C: D1010004 0001E504
	v_add_f32_e64 v5, v5, 1.0                                  // 00000000F9A4: D1010005 0001E505
	v_add_f32_e64 v6, v6, 1.0                                  // 00000000F9AC: D1010006 0001E506
	v_add_f32_e64 v7, v7, 1.0                                  // 00000000F9B4: D1010007 0001E507
	v_rcp_f32_e32 v4, v4                                       // 00000000F9BC: 7E084504
	v_rcp_f32_e32 v5, v5                                       // 00000000F9C0: 7E0A4505
	v_rcp_f32_e32 v6, v6                                       // 00000000F9C4: 7E0C4506
	v_rcp_f32_e32 v7, v7                                       // 00000000F9C8: 7E0E4507
	v_mul_f32_e32 v140, v140, v4                               // 00000000F9CC: 0B18098C
	v_mul_f32_e32 v141, v141, v5                               // 00000000F9D0: 0B1A0B8D
	v_mul_f32_e32 v142, v142, v6                               // 00000000F9D4: 0B1C0D8E
	v_mul_f32_e32 v143, v143, v7                               // 00000000F9D8: 0B1E0F8F
	v_mul_f32_e32 v140, v140, v212                             // 00000000F9DC: 0B19A98C
	v_mul_f32_e32 v141, v141, v213                             // 00000000F9E0: 0B1BAB8D
	v_mul_f32_e32 v142, v142, v214                             // 00000000F9E4: 0B1DAD8E
	v_mul_f32_e32 v143, v143, v215                             // 00000000F9E8: 0B1FAF8F
	v_mul_f32_e64 v4, -v144, s6                                // 00000000F9EC: D1050004 20000D90
	v_mul_f32_e64 v5, -v145, s6                                // 00000000F9F4: D1050005 20000D91
	v_mul_f32_e64 v6, -v146, s6                                // 00000000F9FC: D1050006 20000D92
	v_mul_f32_e64 v7, -v147, s6                                // 00000000FA04: D1050007 20000D93
	v_exp_f32_e32 v4, v4                                       // 00000000FA0C: 7E084104
	v_exp_f32_e32 v5, v5                                       // 00000000FA10: 7E0A4105
	v_exp_f32_e32 v6, v6                                       // 00000000FA14: 7E0C4106
	v_exp_f32_e32 v7, v7                                       // 00000000FA18: 7E0E4107
	v_add_f32_e64 v4, v4, 1.0                                  // 00000000FA1C: D1010004 0001E504
	v_add_f32_e64 v5, v5, 1.0                                  // 00000000FA24: D1010005 0001E505
	v_add_f32_e64 v6, v6, 1.0                                  // 00000000FA2C: D1010006 0001E506
	v_add_f32_e64 v7, v7, 1.0                                  // 00000000FA34: D1010007 0001E507
	v_rcp_f32_e32 v4, v4                                       // 00000000FA3C: 7E084504
	v_rcp_f32_e32 v5, v5                                       // 00000000FA40: 7E0A4505
	v_rcp_f32_e32 v6, v6                                       // 00000000FA44: 7E0C4506
	v_rcp_f32_e32 v7, v7                                       // 00000000FA48: 7E0E4507
	v_mul_f32_e32 v144, v144, v4                               // 00000000FA4C: 0B200990
	v_mul_f32_e32 v145, v145, v5                               // 00000000FA50: 0B220B91
	v_mul_f32_e32 v146, v146, v6                               // 00000000FA54: 0B240D92
	v_mul_f32_e32 v147, v147, v7                               // 00000000FA58: 0B260F93
	v_mul_f32_e32 v144, v144, v216                             // 00000000FA5C: 0B21B190
	v_mul_f32_e32 v145, v145, v217                             // 00000000FA60: 0B23B391
	v_mul_f32_e32 v146, v146, v218                             // 00000000FA64: 0B25B592
	v_mul_f32_e32 v147, v147, v219                             // 00000000FA68: 0B27B793
	v_mul_f32_e64 v4, -v148, s6                                // 00000000FA6C: D1050004 20000D94
	v_mul_f32_e64 v5, -v149, s6                                // 00000000FA74: D1050005 20000D95
	v_mul_f32_e64 v6, -v150, s6                                // 00000000FA7C: D1050006 20000D96
	v_mul_f32_e64 v7, -v151, s6                                // 00000000FA84: D1050007 20000D97
	v_exp_f32_e32 v4, v4                                       // 00000000FA8C: 7E084104
	v_exp_f32_e32 v5, v5                                       // 00000000FA90: 7E0A4105
	v_exp_f32_e32 v6, v6                                       // 00000000FA94: 7E0C4106
	v_exp_f32_e32 v7, v7                                       // 00000000FA98: 7E0E4107
	v_add_f32_e64 v4, v4, 1.0                                  // 00000000FA9C: D1010004 0001E504
	v_add_f32_e64 v5, v5, 1.0                                  // 00000000FAA4: D1010005 0001E505
	v_add_f32_e64 v6, v6, 1.0                                  // 00000000FAAC: D1010006 0001E506
	v_add_f32_e64 v7, v7, 1.0                                  // 00000000FAB4: D1010007 0001E507
	v_rcp_f32_e32 v4, v4                                       // 00000000FABC: 7E084504
	v_rcp_f32_e32 v5, v5                                       // 00000000FAC0: 7E0A4505
	v_rcp_f32_e32 v6, v6                                       // 00000000FAC4: 7E0C4506
	v_rcp_f32_e32 v7, v7                                       // 00000000FAC8: 7E0E4507
	v_mul_f32_e32 v148, v148, v4                               // 00000000FACC: 0B280994
	v_mul_f32_e32 v149, v149, v5                               // 00000000FAD0: 0B2A0B95
	v_mul_f32_e32 v150, v150, v6                               // 00000000FAD4: 0B2C0D96
	v_mul_f32_e32 v151, v151, v7                               // 00000000FAD8: 0B2E0F97
	v_mul_f32_e32 v148, v148, v220                             // 00000000FADC: 0B29B994
	v_mul_f32_e32 v149, v149, v221                             // 00000000FAE0: 0B2BBB95
	v_mul_f32_e32 v150, v150, v222                             // 00000000FAE4: 0B2DBD96
	v_mul_f32_e32 v151, v151, v223                             // 00000000FAE8: 0B2FBF97
	v_mul_f32_e64 v4, -v152, s6                                // 00000000FAEC: D1050004 20000D98
	v_mul_f32_e64 v5, -v153, s6                                // 00000000FAF4: D1050005 20000D99
	v_mul_f32_e64 v6, -v154, s6                                // 00000000FAFC: D1050006 20000D9A
	v_mul_f32_e64 v7, -v155, s6                                // 00000000FB04: D1050007 20000D9B
	v_exp_f32_e32 v4, v4                                       // 00000000FB0C: 7E084104
	v_exp_f32_e32 v5, v5                                       // 00000000FB10: 7E0A4105
	v_exp_f32_e32 v6, v6                                       // 00000000FB14: 7E0C4106
	v_exp_f32_e32 v7, v7                                       // 00000000FB18: 7E0E4107
	v_add_f32_e64 v4, v4, 1.0                                  // 00000000FB1C: D1010004 0001E504
	v_add_f32_e64 v5, v5, 1.0                                  // 00000000FB24: D1010005 0001E505
	v_add_f32_e64 v6, v6, 1.0                                  // 00000000FB2C: D1010006 0001E506
	v_add_f32_e64 v7, v7, 1.0                                  // 00000000FB34: D1010007 0001E507
	v_rcp_f32_e32 v4, v4                                       // 00000000FB3C: 7E084504
	v_rcp_f32_e32 v5, v5                                       // 00000000FB40: 7E0A4505
	v_rcp_f32_e32 v6, v6                                       // 00000000FB44: 7E0C4506
	v_rcp_f32_e32 v7, v7                                       // 00000000FB48: 7E0E4507
	v_mul_f32_e32 v152, v152, v4                               // 00000000FB4C: 0B300998
	v_mul_f32_e32 v153, v153, v5                               // 00000000FB50: 0B320B99
	v_mul_f32_e32 v154, v154, v6                               // 00000000FB54: 0B340D9A
	v_mul_f32_e32 v155, v155, v7                               // 00000000FB58: 0B360F9B
	v_mul_f32_e32 v152, v152, v224                             // 00000000FB5C: 0B31C198
	v_mul_f32_e32 v153, v153, v225                             // 00000000FB60: 0B33C399
	v_mul_f32_e32 v154, v154, v226                             // 00000000FB64: 0B35C59A
	v_mul_f32_e32 v155, v155, v227                             // 00000000FB68: 0B37C79B
	v_mul_f32_e64 v4, -v156, s6                                // 00000000FB6C: D1050004 20000D9C
	v_mul_f32_e64 v5, -v157, s6                                // 00000000FB74: D1050005 20000D9D
	v_mul_f32_e64 v6, -v158, s6                                // 00000000FB7C: D1050006 20000D9E
	v_mul_f32_e64 v7, -v159, s6                                // 00000000FB84: D1050007 20000D9F
	v_exp_f32_e32 v4, v4                                       // 00000000FB8C: 7E084104
	v_exp_f32_e32 v5, v5                                       // 00000000FB90: 7E0A4105
	v_exp_f32_e32 v6, v6                                       // 00000000FB94: 7E0C4106
	v_exp_f32_e32 v7, v7                                       // 00000000FB98: 7E0E4107
	v_add_f32_e64 v4, v4, 1.0                                  // 00000000FB9C: D1010004 0001E504
	v_add_f32_e64 v5, v5, 1.0                                  // 00000000FBA4: D1010005 0001E505
	v_add_f32_e64 v6, v6, 1.0                                  // 00000000FBAC: D1010006 0001E506
	v_add_f32_e64 v7, v7, 1.0                                  // 00000000FBB4: D1010007 0001E507
	v_rcp_f32_e32 v4, v4                                       // 00000000FBBC: 7E084504
	v_rcp_f32_e32 v5, v5                                       // 00000000FBC0: 7E0A4505
	v_rcp_f32_e32 v6, v6                                       // 00000000FBC4: 7E0C4506
	v_rcp_f32_e32 v7, v7                                       // 00000000FBC8: 7E0E4507
	v_mul_f32_e32 v156, v156, v4                               // 00000000FBCC: 0B38099C
	v_mul_f32_e32 v157, v157, v5                               // 00000000FBD0: 0B3A0B9D
	v_mul_f32_e32 v158, v158, v6                               // 00000000FBD4: 0B3C0D9E
	v_mul_f32_e32 v159, v159, v7                               // 00000000FBD8: 0B3E0F9F
	v_mul_f32_e32 v156, v156, v228                             // 00000000FBDC: 0B39C99C
	v_mul_f32_e32 v157, v157, v229                             // 00000000FBE0: 0B3BCB9D
	v_mul_f32_e32 v158, v158, v230                             // 00000000FBE4: 0B3DCD9E
	v_mul_f32_e32 v159, v159, v231                             // 00000000FBE8: 0B3FCF9F

000000000000fbec <label_347E>:
	v_cmp_u_f32_e64 s[46:47], v88, v88                         // 00000000FBEC: D048002E 0002B158
	v_add3_u32 v16, v88, v19, 1                                // 00000000FBF4: D1FF0010 02062758
	v_cndmask_b32_e64 v4, v16, v18, s[46:47]                   // 00000000FBFC: D1000004 00BA2510
	v_cmp_u_f32_e64 s[46:47], v89, v89                         // 00000000FC04: D048002E 0002B359
	v_add3_u32 v16, v89, v19, 1                                // 00000000FC0C: D1FF0010 02062759
	v_cndmask_b32_e64 v5, v16, v18, s[46:47]                   // 00000000FC14: D1000005 00BA2510
	v_perm_b32 v88, v5, v4, s52                                // 00000000FC1C: D1ED0058 00D20905
	v_cmp_u_f32_e64 s[46:47], v90, v90                         // 00000000FC24: D048002E 0002B55A
	v_add3_u32 v16, v90, v19, 1                                // 00000000FC2C: D1FF0010 0206275A
	v_cndmask_b32_e64 v4, v16, v18, s[46:47]                   // 00000000FC34: D1000004 00BA2510
	v_cmp_u_f32_e64 s[46:47], v91, v91                         // 00000000FC3C: D048002E 0002B75B
	v_add3_u32 v16, v91, v19, 1                                // 00000000FC44: D1FF0010 0206275B
	v_cndmask_b32_e64 v5, v16, v18, s[46:47]                   // 00000000FC4C: D1000005 00BA2510
	v_perm_b32 v89, v5, v4, s52                                // 00000000FC54: D1ED0059 00D20905
	v_cmp_u_f32_e64 s[46:47], v92, v92                         // 00000000FC5C: D048002E 0002B95C
	v_add3_u32 v16, v92, v19, 1                                // 00000000FC64: D1FF0010 0206275C
	v_cndmask_b32_e64 v4, v16, v18, s[46:47]                   // 00000000FC6C: D1000004 00BA2510
	v_cmp_u_f32_e64 s[46:47], v93, v93                         // 00000000FC74: D048002E 0002BB5D
	v_add3_u32 v16, v93, v19, 1                                // 00000000FC7C: D1FF0010 0206275D
	v_cndmask_b32_e64 v5, v16, v18, s[46:47]                   // 00000000FC84: D1000005 00BA2510
	v_perm_b32 v90, v5, v4, s52                                // 00000000FC8C: D1ED005A 00D20905
	v_cmp_u_f32_e64 s[46:47], v94, v94                         // 00000000FC94: D048002E 0002BD5E
	v_add3_u32 v16, v94, v19, 1                                // 00000000FC9C: D1FF0010 0206275E
	v_cndmask_b32_e64 v4, v16, v18, s[46:47]                   // 00000000FCA4: D1000004 00BA2510
	v_cmp_u_f32_e64 s[46:47], v95, v95                         // 00000000FCAC: D048002E 0002BF5F
	v_add3_u32 v16, v95, v19, 1                                // 00000000FCB4: D1FF0010 0206275F
	v_cndmask_b32_e64 v5, v16, v18, s[46:47]                   // 00000000FCBC: D1000005 00BA2510
	v_perm_b32 v91, v5, v4, s52                                // 00000000FCC4: D1ED005B 00D20905
	v_cmp_u_f32_e64 s[46:47], v96, v96                         // 00000000FCCC: D048002E 0002C160
	v_add3_u32 v16, v96, v19, 1                                // 00000000FCD4: D1FF0010 02062760
	v_cndmask_b32_e64 v4, v16, v18, s[46:47]                   // 00000000FCDC: D1000004 00BA2510
	v_cmp_u_f32_e64 s[46:47], v97, v97                         // 00000000FCE4: D048002E 0002C361
	v_add3_u32 v16, v97, v19, 1                                // 00000000FCEC: D1FF0010 02062761
	v_cndmask_b32_e64 v5, v16, v18, s[46:47]                   // 00000000FCF4: D1000005 00BA2510
	v_perm_b32 v92, v5, v4, s52                                // 00000000FCFC: D1ED005C 00D20905
	v_cmp_u_f32_e64 s[46:47], v98, v98                         // 00000000FD04: D048002E 0002C562
	v_add3_u32 v16, v98, v19, 1                                // 00000000FD0C: D1FF0010 02062762
	v_cndmask_b32_e64 v4, v16, v18, s[46:47]                   // 00000000FD14: D1000004 00BA2510
	v_cmp_u_f32_e64 s[46:47], v99, v99                         // 00000000FD1C: D048002E 0002C763
	v_add3_u32 v16, v99, v19, 1                                // 00000000FD24: D1FF0010 02062763
	v_cndmask_b32_e64 v5, v16, v18, s[46:47]                   // 00000000FD2C: D1000005 00BA2510
	v_perm_b32 v93, v5, v4, s52                                // 00000000FD34: D1ED005D 00D20905
	v_cmp_u_f32_e64 s[46:47], v100, v100                       // 00000000FD3C: D048002E 0002C964
	v_add3_u32 v16, v100, v19, 1                               // 00000000FD44: D1FF0010 02062764
	v_cndmask_b32_e64 v4, v16, v18, s[46:47]                   // 00000000FD4C: D1000004 00BA2510
	v_cmp_u_f32_e64 s[46:47], v101, v101                       // 00000000FD54: D048002E 0002CB65
	v_add3_u32 v16, v101, v19, 1                               // 00000000FD5C: D1FF0010 02062765
	v_cndmask_b32_e64 v5, v16, v18, s[46:47]                   // 00000000FD64: D1000005 00BA2510
	v_perm_b32 v94, v5, v4, s52                                // 00000000FD6C: D1ED005E 00D20905
	v_cmp_u_f32_e64 s[46:47], v102, v102                       // 00000000FD74: D048002E 0002CD66
	v_add3_u32 v16, v102, v19, 1                               // 00000000FD7C: D1FF0010 02062766
	v_cndmask_b32_e64 v4, v16, v18, s[46:47]                   // 00000000FD84: D1000004 00BA2510
	v_cmp_u_f32_e64 s[46:47], v103, v103                       // 00000000FD8C: D048002E 0002CF67
	v_add3_u32 v16, v103, v19, 1                               // 00000000FD94: D1FF0010 02062767
	v_cndmask_b32_e64 v5, v16, v18, s[46:47]                   // 00000000FD9C: D1000005 00BA2510
	v_perm_b32 v95, v5, v4, s52                                // 00000000FDA4: D1ED005F 00D20905
	v_cmp_u_f32_e64 s[46:47], v104, v104                       // 00000000FDAC: D048002E 0002D168
	v_add3_u32 v16, v104, v19, 1                               // 00000000FDB4: D1FF0010 02062768
	v_cndmask_b32_e64 v4, v16, v18, s[46:47]                   // 00000000FDBC: D1000004 00BA2510
	v_cmp_u_f32_e64 s[46:47], v105, v105                       // 00000000FDC4: D048002E 0002D369
	v_add3_u32 v16, v105, v19, 1                               // 00000000FDCC: D1FF0010 02062769
	v_cndmask_b32_e64 v5, v16, v18, s[46:47]                   // 00000000FDD4: D1000005 00BA2510
	v_perm_b32 v96, v5, v4, s52                                // 00000000FDDC: D1ED0060 00D20905
	v_cmp_u_f32_e64 s[46:47], v106, v106                       // 00000000FDE4: D048002E 0002D56A
	v_add3_u32 v16, v106, v19, 1                               // 00000000FDEC: D1FF0010 0206276A
	v_cndmask_b32_e64 v4, v16, v18, s[46:47]                   // 00000000FDF4: D1000004 00BA2510
	v_cmp_u_f32_e64 s[46:47], v107, v107                       // 00000000FDFC: D048002E 0002D76B
	v_add3_u32 v16, v107, v19, 1                               // 00000000FE04: D1FF0010 0206276B
	v_cndmask_b32_e64 v5, v16, v18, s[46:47]                   // 00000000FE0C: D1000005 00BA2510
	v_perm_b32 v97, v5, v4, s52                                // 00000000FE14: D1ED0061 00D20905
	v_cmp_u_f32_e64 s[46:47], v108, v108                       // 00000000FE1C: D048002E 0002D96C
	v_add3_u32 v16, v108, v19, 1                               // 00000000FE24: D1FF0010 0206276C
	v_cndmask_b32_e64 v4, v16, v18, s[46:47]                   // 00000000FE2C: D1000004 00BA2510
	v_cmp_u_f32_e64 s[46:47], v109, v109                       // 00000000FE34: D048002E 0002DB6D
	v_add3_u32 v16, v109, v19, 1                               // 00000000FE3C: D1FF0010 0206276D
	v_cndmask_b32_e64 v5, v16, v18, s[46:47]                   // 00000000FE44: D1000005 00BA2510
	v_perm_b32 v98, v5, v4, s52                                // 00000000FE4C: D1ED0062 00D20905
	v_cmp_u_f32_e64 s[46:47], v110, v110                       // 00000000FE54: D048002E 0002DD6E
	v_add3_u32 v16, v110, v19, 1                               // 00000000FE5C: D1FF0010 0206276E
	v_cndmask_b32_e64 v4, v16, v18, s[46:47]                   // 00000000FE64: D1000004 00BA2510
	v_cmp_u_f32_e64 s[46:47], v111, v111                       // 00000000FE6C: D048002E 0002DF6F
	v_add3_u32 v16, v111, v19, 1                               // 00000000FE74: D1FF0010 0206276F
	v_cndmask_b32_e64 v5, v16, v18, s[46:47]                   // 00000000FE7C: D1000005 00BA2510
	v_perm_b32 v99, v5, v4, s52                                // 00000000FE84: D1ED0063 00D20905
	v_cmp_u_f32_e64 s[46:47], v112, v112                       // 00000000FE8C: D048002E 0002E170
	v_add3_u32 v16, v112, v19, 1                               // 00000000FE94: D1FF0010 02062770
	v_cndmask_b32_e64 v4, v16, v18, s[46:47]                   // 00000000FE9C: D1000004 00BA2510
	v_cmp_u_f32_e64 s[46:47], v113, v113                       // 00000000FEA4: D048002E 0002E371
	v_add3_u32 v16, v113, v19, 1                               // 00000000FEAC: D1FF0010 02062771
	v_cndmask_b32_e64 v5, v16, v18, s[46:47]                   // 00000000FEB4: D1000005 00BA2510
	v_perm_b32 v100, v5, v4, s52                               // 00000000FEBC: D1ED0064 00D20905
	v_cmp_u_f32_e64 s[46:47], v114, v114                       // 00000000FEC4: D048002E 0002E572
	v_add3_u32 v16, v114, v19, 1                               // 00000000FECC: D1FF0010 02062772
	v_cndmask_b32_e64 v4, v16, v18, s[46:47]                   // 00000000FED4: D1000004 00BA2510
	v_cmp_u_f32_e64 s[46:47], v115, v115                       // 00000000FEDC: D048002E 0002E773
	v_add3_u32 v16, v115, v19, 1                               // 00000000FEE4: D1FF0010 02062773
	v_cndmask_b32_e64 v5, v16, v18, s[46:47]                   // 00000000FEEC: D1000005 00BA2510
	v_perm_b32 v101, v5, v4, s52                               // 00000000FEF4: D1ED0065 00D20905
	v_cmp_u_f32_e64 s[46:47], v116, v116                       // 00000000FEFC: D048002E 0002E974
	v_add3_u32 v16, v116, v19, 1                               // 00000000FF04: D1FF0010 02062774
	v_cndmask_b32_e64 v4, v16, v18, s[46:47]                   // 00000000FF0C: D1000004 00BA2510
	v_cmp_u_f32_e64 s[46:47], v117, v117                       // 00000000FF14: D048002E 0002EB75
	v_add3_u32 v16, v117, v19, 1                               // 00000000FF1C: D1FF0010 02062775
	v_cndmask_b32_e64 v5, v16, v18, s[46:47]                   // 00000000FF24: D1000005 00BA2510
	v_perm_b32 v102, v5, v4, s52                               // 00000000FF2C: D1ED0066 00D20905
	v_cmp_u_f32_e64 s[46:47], v118, v118                       // 00000000FF34: D048002E 0002ED76
	v_add3_u32 v16, v118, v19, 1                               // 00000000FF3C: D1FF0010 02062776
	v_cndmask_b32_e64 v4, v16, v18, s[46:47]                   // 00000000FF44: D1000004 00BA2510
	v_cmp_u_f32_e64 s[46:47], v119, v119                       // 00000000FF4C: D048002E 0002EF77
	v_add3_u32 v16, v119, v19, 1                               // 00000000FF54: D1FF0010 02062777
	v_cndmask_b32_e64 v5, v16, v18, s[46:47]                   // 00000000FF5C: D1000005 00BA2510
	v_perm_b32 v103, v5, v4, s52                               // 00000000FF64: D1ED0067 00D20905
	v_cmp_u_f32_e64 s[46:47], v120, v120                       // 00000000FF6C: D048002E 0002F178
	v_add3_u32 v16, v120, v19, 1                               // 00000000FF74: D1FF0010 02062778
	v_cndmask_b32_e64 v4, v16, v18, s[46:47]                   // 00000000FF7C: D1000004 00BA2510
	v_cmp_u_f32_e64 s[46:47], v121, v121                       // 00000000FF84: D048002E 0002F379
	v_add3_u32 v16, v121, v19, 1                               // 00000000FF8C: D1FF0010 02062779
	v_cndmask_b32_e64 v5, v16, v18, s[46:47]                   // 00000000FF94: D1000005 00BA2510
	v_perm_b32 v104, v5, v4, s52                               // 00000000FF9C: D1ED0068 00D20905
	v_cmp_u_f32_e64 s[46:47], v122, v122                       // 00000000FFA4: D048002E 0002F57A
	v_add3_u32 v16, v122, v19, 1                               // 00000000FFAC: D1FF0010 0206277A
	v_cndmask_b32_e64 v4, v16, v18, s[46:47]                   // 00000000FFB4: D1000004 00BA2510
	v_cmp_u_f32_e64 s[46:47], v123, v123                       // 00000000FFBC: D048002E 0002F77B
	v_add3_u32 v16, v123, v19, 1                               // 00000000FFC4: D1FF0010 0206277B
	v_cndmask_b32_e64 v5, v16, v18, s[46:47]                   // 00000000FFCC: D1000005 00BA2510
	v_perm_b32 v105, v5, v4, s52                               // 00000000FFD4: D1ED0069 00D20905
	v_cmp_u_f32_e64 s[46:47], v124, v124                       // 00000000FFDC: D048002E 0002F97C
	v_add3_u32 v16, v124, v19, 1                               // 00000000FFE4: D1FF0010 0206277C
	v_cndmask_b32_e64 v4, v16, v18, s[46:47]                   // 00000000FFEC: D1000004 00BA2510
	v_cmp_u_f32_e64 s[46:47], v125, v125                       // 00000000FFF4: D048002E 0002FB7D
	v_add3_u32 v16, v125, v19, 1                               // 00000000FFFC: D1FF0010 0206277D
	v_cndmask_b32_e64 v5, v16, v18, s[46:47]                   // 000000010004: D1000005 00BA2510
	v_perm_b32 v106, v5, v4, s52                               // 00000001000C: D1ED006A 00D20905
	v_cmp_u_f32_e64 s[46:47], v126, v126                       // 000000010014: D048002E 0002FD7E
	v_add3_u32 v16, v126, v19, 1                               // 00000001001C: D1FF0010 0206277E
	v_cndmask_b32_e64 v4, v16, v18, s[46:47]                   // 000000010024: D1000004 00BA2510
	v_cmp_u_f32_e64 s[46:47], v127, v127                       // 00000001002C: D048002E 0002FF7F
	v_add3_u32 v16, v127, v19, 1                               // 000000010034: D1FF0010 0206277F
	v_cndmask_b32_e64 v5, v16, v18, s[46:47]                   // 00000001003C: D1000005 00BA2510
	v_perm_b32 v107, v5, v4, s52                               // 000000010044: D1ED006B 00D20905
	v_cmp_u_f32_e64 s[46:47], v128, v128                       // 00000001004C: D048002E 00030180
	v_add3_u32 v16, v128, v19, 1                               // 000000010054: D1FF0010 02062780
	v_cndmask_b32_e64 v4, v16, v18, s[46:47]                   // 00000001005C: D1000004 00BA2510
	v_cmp_u_f32_e64 s[46:47], v129, v129                       // 000000010064: D048002E 00030381
	v_add3_u32 v16, v129, v19, 1                               // 00000001006C: D1FF0010 02062781
	v_cndmask_b32_e64 v5, v16, v18, s[46:47]                   // 000000010074: D1000005 00BA2510
	v_perm_b32 v108, v5, v4, s52                               // 00000001007C: D1ED006C 00D20905
	v_cmp_u_f32_e64 s[46:47], v130, v130                       // 000000010084: D048002E 00030582
	v_add3_u32 v16, v130, v19, 1                               // 00000001008C: D1FF0010 02062782
	v_cndmask_b32_e64 v4, v16, v18, s[46:47]                   // 000000010094: D1000004 00BA2510
	v_cmp_u_f32_e64 s[46:47], v131, v131                       // 00000001009C: D048002E 00030783
	v_add3_u32 v16, v131, v19, 1                               // 0000000100A4: D1FF0010 02062783
	v_cndmask_b32_e64 v5, v16, v18, s[46:47]                   // 0000000100AC: D1000005 00BA2510
	v_perm_b32 v109, v5, v4, s52                               // 0000000100B4: D1ED006D 00D20905
	v_cmp_u_f32_e64 s[46:47], v132, v132                       // 0000000100BC: D048002E 00030984
	v_add3_u32 v16, v132, v19, 1                               // 0000000100C4: D1FF0010 02062784
	v_cndmask_b32_e64 v4, v16, v18, s[46:47]                   // 0000000100CC: D1000004 00BA2510
	v_cmp_u_f32_e64 s[46:47], v133, v133                       // 0000000100D4: D048002E 00030B85
	v_add3_u32 v16, v133, v19, 1                               // 0000000100DC: D1FF0010 02062785
	v_cndmask_b32_e64 v5, v16, v18, s[46:47]                   // 0000000100E4: D1000005 00BA2510
	v_perm_b32 v110, v5, v4, s52                               // 0000000100EC: D1ED006E 00D20905
	v_cmp_u_f32_e64 s[46:47], v134, v134                       // 0000000100F4: D048002E 00030D86
	v_add3_u32 v16, v134, v19, 1                               // 0000000100FC: D1FF0010 02062786
	v_cndmask_b32_e64 v4, v16, v18, s[46:47]                   // 000000010104: D1000004 00BA2510
	v_cmp_u_f32_e64 s[46:47], v135, v135                       // 00000001010C: D048002E 00030F87
	v_add3_u32 v16, v135, v19, 1                               // 000000010114: D1FF0010 02062787
	v_cndmask_b32_e64 v5, v16, v18, s[46:47]                   // 00000001011C: D1000005 00BA2510
	v_perm_b32 v111, v5, v4, s52                               // 000000010124: D1ED006F 00D20905
	v_cmp_u_f32_e64 s[46:47], v136, v136                       // 00000001012C: D048002E 00031188
	v_add3_u32 v16, v136, v19, 1                               // 000000010134: D1FF0010 02062788
	v_cndmask_b32_e64 v4, v16, v18, s[46:47]                   // 00000001013C: D1000004 00BA2510
	v_cmp_u_f32_e64 s[46:47], v137, v137                       // 000000010144: D048002E 00031389
	v_add3_u32 v16, v137, v19, 1                               // 00000001014C: D1FF0010 02062789
	v_cndmask_b32_e64 v5, v16, v18, s[46:47]                   // 000000010154: D1000005 00BA2510
	v_perm_b32 v112, v5, v4, s52                               // 00000001015C: D1ED0070 00D20905
	v_cmp_u_f32_e64 s[46:47], v138, v138                       // 000000010164: D048002E 0003158A
	v_add3_u32 v16, v138, v19, 1                               // 00000001016C: D1FF0010 0206278A
	v_cndmask_b32_e64 v4, v16, v18, s[46:47]                   // 000000010174: D1000004 00BA2510
	v_cmp_u_f32_e64 s[46:47], v139, v139                       // 00000001017C: D048002E 0003178B
	v_add3_u32 v16, v139, v19, 1                               // 000000010184: D1FF0010 0206278B
	v_cndmask_b32_e64 v5, v16, v18, s[46:47]                   // 00000001018C: D1000005 00BA2510
	v_perm_b32 v113, v5, v4, s52                               // 000000010194: D1ED0071 00D20905
	v_cmp_u_f32_e64 s[46:47], v140, v140                       // 00000001019C: D048002E 0003198C
	v_add3_u32 v16, v140, v19, 1                               // 0000000101A4: D1FF0010 0206278C
	v_cndmask_b32_e64 v4, v16, v18, s[46:47]                   // 0000000101AC: D1000004 00BA2510
	v_cmp_u_f32_e64 s[46:47], v141, v141                       // 0000000101B4: D048002E 00031B8D
	v_add3_u32 v16, v141, v19, 1                               // 0000000101BC: D1FF0010 0206278D
	v_cndmask_b32_e64 v5, v16, v18, s[46:47]                   // 0000000101C4: D1000005 00BA2510
	v_perm_b32 v114, v5, v4, s52                               // 0000000101CC: D1ED0072 00D20905
	v_cmp_u_f32_e64 s[46:47], v142, v142                       // 0000000101D4: D048002E 00031D8E
	v_add3_u32 v16, v142, v19, 1                               // 0000000101DC: D1FF0010 0206278E
	v_cndmask_b32_e64 v4, v16, v18, s[46:47]                   // 0000000101E4: D1000004 00BA2510
	v_cmp_u_f32_e64 s[46:47], v143, v143                       // 0000000101EC: D048002E 00031F8F
	v_add3_u32 v16, v143, v19, 1                               // 0000000101F4: D1FF0010 0206278F
	v_cndmask_b32_e64 v5, v16, v18, s[46:47]                   // 0000000101FC: D1000005 00BA2510
	v_perm_b32 v115, v5, v4, s52                               // 000000010204: D1ED0073 00D20905
	v_cmp_u_f32_e64 s[46:47], v144, v144                       // 00000001020C: D048002E 00032190
	v_add3_u32 v16, v144, v19, 1                               // 000000010214: D1FF0010 02062790
	v_cndmask_b32_e64 v4, v16, v18, s[46:47]                   // 00000001021C: D1000004 00BA2510
	v_cmp_u_f32_e64 s[46:47], v145, v145                       // 000000010224: D048002E 00032391
	v_add3_u32 v16, v145, v19, 1                               // 00000001022C: D1FF0010 02062791
	v_cndmask_b32_e64 v5, v16, v18, s[46:47]                   // 000000010234: D1000005 00BA2510
	v_perm_b32 v116, v5, v4, s52                               // 00000001023C: D1ED0074 00D20905
	v_cmp_u_f32_e64 s[46:47], v146, v146                       // 000000010244: D048002E 00032592
	v_add3_u32 v16, v146, v19, 1                               // 00000001024C: D1FF0010 02062792
	v_cndmask_b32_e64 v4, v16, v18, s[46:47]                   // 000000010254: D1000004 00BA2510
	v_cmp_u_f32_e64 s[46:47], v147, v147                       // 00000001025C: D048002E 00032793
	v_add3_u32 v16, v147, v19, 1                               // 000000010264: D1FF0010 02062793
	v_cndmask_b32_e64 v5, v16, v18, s[46:47]                   // 00000001026C: D1000005 00BA2510
	v_perm_b32 v117, v5, v4, s52                               // 000000010274: D1ED0075 00D20905
	v_cmp_u_f32_e64 s[46:47], v148, v148                       // 00000001027C: D048002E 00032994
	v_add3_u32 v16, v148, v19, 1                               // 000000010284: D1FF0010 02062794
	v_cndmask_b32_e64 v4, v16, v18, s[46:47]                   // 00000001028C: D1000004 00BA2510
	v_cmp_u_f32_e64 s[46:47], v149, v149                       // 000000010294: D048002E 00032B95
	v_add3_u32 v16, v149, v19, 1                               // 00000001029C: D1FF0010 02062795
	v_cndmask_b32_e64 v5, v16, v18, s[46:47]                   // 0000000102A4: D1000005 00BA2510
	v_perm_b32 v118, v5, v4, s52                               // 0000000102AC: D1ED0076 00D20905
	v_cmp_u_f32_e64 s[46:47], v150, v150                       // 0000000102B4: D048002E 00032D96
	v_add3_u32 v16, v150, v19, 1                               // 0000000102BC: D1FF0010 02062796
	v_cndmask_b32_e64 v4, v16, v18, s[46:47]                   // 0000000102C4: D1000004 00BA2510
	v_cmp_u_f32_e64 s[46:47], v151, v151                       // 0000000102CC: D048002E 00032F97
	v_add3_u32 v16, v151, v19, 1                               // 0000000102D4: D1FF0010 02062797
	v_cndmask_b32_e64 v5, v16, v18, s[46:47]                   // 0000000102DC: D1000005 00BA2510
	v_perm_b32 v119, v5, v4, s52                               // 0000000102E4: D1ED0077 00D20905
	v_cmp_u_f32_e64 s[46:47], v152, v152                       // 0000000102EC: D048002E 00033198
	v_add3_u32 v16, v152, v19, 1                               // 0000000102F4: D1FF0010 02062798
	v_cndmask_b32_e64 v4, v16, v18, s[46:47]                   // 0000000102FC: D1000004 00BA2510
	v_cmp_u_f32_e64 s[46:47], v153, v153                       // 000000010304: D048002E 00033399
	v_add3_u32 v16, v153, v19, 1                               // 00000001030C: D1FF0010 02062799
	v_cndmask_b32_e64 v5, v16, v18, s[46:47]                   // 000000010314: D1000005 00BA2510
	v_perm_b32 v120, v5, v4, s52                               // 00000001031C: D1ED0078 00D20905
	v_cmp_u_f32_e64 s[46:47], v154, v154                       // 000000010324: D048002E 0003359A
	v_add3_u32 v16, v154, v19, 1                               // 00000001032C: D1FF0010 0206279A
	v_cndmask_b32_e64 v4, v16, v18, s[46:47]                   // 000000010334: D1000004 00BA2510
	v_cmp_u_f32_e64 s[46:47], v155, v155                       // 00000001033C: D048002E 0003379B
	v_add3_u32 v16, v155, v19, 1                               // 000000010344: D1FF0010 0206279B
	v_cndmask_b32_e64 v5, v16, v18, s[46:47]                   // 00000001034C: D1000005 00BA2510
	v_perm_b32 v121, v5, v4, s52                               // 000000010354: D1ED0079 00D20905
	v_cmp_u_f32_e64 s[46:47], v156, v156                       // 00000001035C: D048002E 0003399C
	v_add3_u32 v16, v156, v19, 1                               // 000000010364: D1FF0010 0206279C
	v_cndmask_b32_e64 v4, v16, v18, s[46:47]                   // 00000001036C: D1000004 00BA2510
	v_cmp_u_f32_e64 s[46:47], v157, v157                       // 000000010374: D048002E 00033B9D
	v_add3_u32 v16, v157, v19, 1                               // 00000001037C: D1FF0010 0206279D
	v_cndmask_b32_e64 v5, v16, v18, s[46:47]                   // 000000010384: D1000005 00BA2510
	v_perm_b32 v122, v5, v4, s52                               // 00000001038C: D1ED007A 00D20905
	v_cmp_u_f32_e64 s[46:47], v158, v158                       // 000000010394: D048002E 00033D9E
	v_add3_u32 v16, v158, v19, 1                               // 00000001039C: D1FF0010 0206279E
	v_cndmask_b32_e64 v4, v16, v18, s[46:47]                   // 0000000103A4: D1000004 00BA2510
	v_cmp_u_f32_e64 s[46:47], v159, v159                       // 0000000103AC: D048002E 00033F9F
	v_add3_u32 v16, v159, v19, 1                               // 0000000103B4: D1FF0010 0206279F
	v_cndmask_b32_e64 v5, v16, v18, s[46:47]                   // 0000000103BC: D1000005 00BA2510
	v_perm_b32 v123, v5, v4, s52                               // 0000000103C4: D1ED007B 00D20905
	ds_write_b64 v20, v[88:89]                                 // 0000000103CC: D89A0000 00005814
	ds_write_b64 v20, v[90:91] offset:4352                     // 0000000103D4: D89A1100 00005A14
	ds_write_b64 v20, v[92:93] offset:8704                     // 0000000103DC: D89A2200 00005C14
	ds_write_b64 v20, v[94:95] offset:13056                    // 0000000103E4: D89A3300 00005E14
	ds_write_b64 v20, v[96:97] offset:17408                    // 0000000103EC: D89A4400 00006014
	ds_write_b64 v20, v[98:99] offset:21760                    // 0000000103F4: D89A5500 00006214
	ds_write_b64 v20, v[100:101] offset:26112                  // 0000000103FC: D89A6600 00006414
	ds_write_b64 v20, v[102:103] offset:30464                  // 000000010404: D89A7700 00006614
	ds_write_b64 v20, v[104:105] offset:34816                  // 00000001040C: D89A8800 00006814
	ds_write_b64 v20, v[106:107] offset:2176                   // 000000010414: D89A0880 00006A14
	ds_write_b64 v20, v[108:109] offset:6528                   // 00000001041C: D89A1980 00006C14
	ds_write_b64 v20, v[110:111] offset:10880                  // 000000010424: D89A2A80 00006E14
	ds_write_b64 v20, v[112:113] offset:15232                  // 00000001042C: D89A3B80 00007014
	ds_write_b64 v20, v[114:115] offset:19584                  // 000000010434: D89A4C80 00007214
	ds_write_b64 v20, v[116:117] offset:23936                  // 00000001043C: D89A5D80 00007414
	ds_write_b64 v20, v[118:119] offset:28288                  // 000000010444: D89A6E80 00007614
	ds_write_b64 v20, v[120:121] offset:32640                  // 00000001044C: D89A7F80 00007814
	ds_write_b64 v20, v[122:123] offset:36992                  // 000000010454: D89A9080 00007A14
	v_lshrrev_b32_e32 v4, 5, v0                                // 00000001045C: 20080085
	v_xor_b32_e32 v5, 1, v4                                    // 000000010460: 2A0A0881
	s_mul_i32 s60, s65, 2                                      // 000000010464: 923C8241
	s_cmp_eq_u32 s88, 0                                        // 000000010468: BF068058
	s_cselect_b32 s61, 1, 4                                    // 00000001046C: 853D8481
	s_mul_i32 s60, s61, s60                                    // 000000010470: 923C3C3D
	v_readlane_b32 s82, v3, 0                                  // 000000010474: D2890052 00010103
	s_lshr_b32 s61, s82, 24                                    // 00000001047C: 8F3D9852
	s_and_b32 s82, s82, 0xffffff                               // 000000010480: 8652FF52 00FFFFFF
	s_mul_i32 s82, s82, s71                                    // 000000010488: 92524752
	s_mul_i32 s61, s60, s61                                    // 00000001048C: 923D3D3C
	s_add_u32 s82, s82, s61                                    // 000000010490: 80523D52
	v_mul_lo_u32 v6, v5, s82                                   // 000000010494: D2850006 0000A505
	v_readlane_b32 s82, v3, 1                                  // 00000001049C: D2890052 00010303
	s_lshr_b32 s61, s82, 24                                    // 0000000104A4: 8F3D9852
	s_and_b32 s82, s82, 0xffffff                               // 0000000104A8: 8652FF52 00FFFFFF
	s_mul_i32 s82, s82, s71                                    // 0000000104B0: 92524752
	s_mul_i32 s61, s60, s61                                    // 0000000104B4: 923D3D3C
	s_add_u32 s82, s82, s61                                    // 0000000104B8: 80523D52
	v_mul_lo_u32 v7, v4, s82                                   // 0000000104BC: D2850007 0000A504
	v_add_u32_e32 v66, v6, v7                                  // 0000000104C4: 68840F06
	v_readlane_b32 s82, v3, 2                                  // 0000000104C8: D2890052 00010503
	s_lshr_b32 s61, s82, 24                                    // 0000000104D0: 8F3D9852
	s_and_b32 s82, s82, 0xffffff                               // 0000000104D4: 8652FF52 00FFFFFF
	s_mul_i32 s82, s82, s71                                    // 0000000104DC: 92524752
	s_mul_i32 s61, s60, s61                                    // 0000000104E0: 923D3D3C
	s_add_u32 s82, s82, s61                                    // 0000000104E4: 80523D52
	v_mul_lo_u32 v6, v5, s82                                   // 0000000104E8: D2850006 0000A505
	v_readlane_b32 s82, v3, 3                                  // 0000000104F0: D2890052 00010703
	s_lshr_b32 s61, s82, 24                                    // 0000000104F8: 8F3D9852
	s_and_b32 s82, s82, 0xffffff                               // 0000000104FC: 8652FF52 00FFFFFF
	s_mul_i32 s82, s82, s71                                    // 000000010504: 92524752
	s_mul_i32 s61, s60, s61                                    // 000000010508: 923D3D3C
	s_add_u32 s82, s82, s61                                    // 00000001050C: 80523D52
	v_mul_lo_u32 v7, v4, s82                                   // 000000010510: D2850007 0000A504
	v_add_u32_e32 v67, v6, v7                                  // 000000010518: 68860F06
	v_readlane_b32 s82, v3, 4                                  // 00000001051C: D2890052 00010903
	s_lshr_b32 s61, s82, 24                                    // 000000010524: 8F3D9852
	s_and_b32 s82, s82, 0xffffff                               // 000000010528: 8652FF52 00FFFFFF
	s_mul_i32 s82, s82, s71                                    // 000000010530: 92524752
	s_mul_i32 s61, s60, s61                                    // 000000010534: 923D3D3C
	s_add_u32 s82, s82, s61                                    // 000000010538: 80523D52
	v_mul_lo_u32 v6, v5, s82                                   // 00000001053C: D2850006 0000A505
	v_readlane_b32 s82, v3, 5                                  // 000000010544: D2890052 00010B03
	s_lshr_b32 s61, s82, 24                                    // 00000001054C: 8F3D9852
	s_and_b32 s82, s82, 0xffffff                               // 000000010550: 8652FF52 00FFFFFF
	s_mul_i32 s82, s82, s71                                    // 000000010558: 92524752
	s_mul_i32 s61, s60, s61                                    // 00000001055C: 923D3D3C
	s_add_u32 s82, s82, s61                                    // 000000010560: 80523D52
	v_mul_lo_u32 v7, v4, s82                                   // 000000010564: D2850007 0000A504
	v_add_u32_e32 v68, v6, v7                                  // 00000001056C: 68880F06
	v_readlane_b32 s82, v3, 6                                  // 000000010570: D2890052 00010D03
	s_lshr_b32 s61, s82, 24                                    // 000000010578: 8F3D9852
	s_and_b32 s82, s82, 0xffffff                               // 00000001057C: 8652FF52 00FFFFFF
	s_mul_i32 s82, s82, s71                                    // 000000010584: 92524752
	s_mul_i32 s61, s60, s61                                    // 000000010588: 923D3D3C
	s_add_u32 s82, s82, s61                                    // 00000001058C: 80523D52
	v_mul_lo_u32 v6, v5, s82                                   // 000000010590: D2850006 0000A505
	v_readlane_b32 s82, v3, 7                                  // 000000010598: D2890052 00010F03
	s_lshr_b32 s61, s82, 24                                    // 0000000105A0: 8F3D9852
	s_and_b32 s82, s82, 0xffffff                               // 0000000105A4: 8652FF52 00FFFFFF
	s_mul_i32 s82, s82, s71                                    // 0000000105AC: 92524752
	s_mul_i32 s61, s60, s61                                    // 0000000105B0: 923D3D3C
	s_add_u32 s82, s82, s61                                    // 0000000105B4: 80523D52
	v_mul_lo_u32 v7, v4, s82                                   // 0000000105B8: D2850007 0000A504
	v_add_u32_e32 v69, v6, v7                                  // 0000000105C0: 688A0F06
	v_readlane_b32 s82, v3, 8                                  // 0000000105C4: D2890052 00011103
	s_lshr_b32 s61, s82, 24                                    // 0000000105CC: 8F3D9852
	s_and_b32 s82, s82, 0xffffff                               // 0000000105D0: 8652FF52 00FFFFFF
	s_mul_i32 s82, s82, s71                                    // 0000000105D8: 92524752
	s_mul_i32 s61, s60, s61                                    // 0000000105DC: 923D3D3C
	s_add_u32 s82, s82, s61                                    // 0000000105E0: 80523D52
	v_mul_lo_u32 v6, v5, s82                                   // 0000000105E4: D2850006 0000A505
	v_readlane_b32 s82, v3, 9                                  // 0000000105EC: D2890052 00011303
	s_lshr_b32 s61, s82, 24                                    // 0000000105F4: 8F3D9852
	s_and_b32 s82, s82, 0xffffff                               // 0000000105F8: 8652FF52 00FFFFFF
	s_mul_i32 s82, s82, s71                                    // 000000010600: 92524752
	s_mul_i32 s61, s60, s61                                    // 000000010604: 923D3D3C
	s_add_u32 s82, s82, s61                                    // 000000010608: 80523D52
	v_mul_lo_u32 v7, v4, s82                                   // 00000001060C: D2850007 0000A504
	v_add_u32_e32 v70, v6, v7                                  // 000000010614: 688C0F06
	v_readlane_b32 s82, v3, 10                                 // 000000010618: D2890052 00011503
	s_lshr_b32 s61, s82, 24                                    // 000000010620: 8F3D9852
	s_and_b32 s82, s82, 0xffffff                               // 000000010624: 8652FF52 00FFFFFF
	s_mul_i32 s82, s82, s71                                    // 00000001062C: 92524752
	s_mul_i32 s61, s60, s61                                    // 000000010630: 923D3D3C
	s_add_u32 s82, s82, s61                                    // 000000010634: 80523D52
	v_mul_lo_u32 v6, v5, s82                                   // 000000010638: D2850006 0000A505
	v_readlane_b32 s82, v3, 11                                 // 000000010640: D2890052 00011703
	s_lshr_b32 s61, s82, 24                                    // 000000010648: 8F3D9852
	s_and_b32 s82, s82, 0xffffff                               // 00000001064C: 8652FF52 00FFFFFF
	s_mul_i32 s82, s82, s71                                    // 000000010654: 92524752
	s_mul_i32 s61, s60, s61                                    // 000000010658: 923D3D3C
	s_add_u32 s82, s82, s61                                    // 00000001065C: 80523D52
	v_mul_lo_u32 v7, v4, s82                                   // 000000010660: D2850007 0000A504
	v_add_u32_e32 v71, v6, v7                                  // 000000010668: 688E0F06
	v_readlane_b32 s82, v3, 12                                 // 00000001066C: D2890052 00011903
	s_lshr_b32 s61, s82, 24                                    // 000000010674: 8F3D9852
	s_and_b32 s82, s82, 0xffffff                               // 000000010678: 8652FF52 00FFFFFF
	s_mul_i32 s82, s82, s71                                    // 000000010680: 92524752
	s_mul_i32 s61, s60, s61                                    // 000000010684: 923D3D3C
	s_add_u32 s82, s82, s61                                    // 000000010688: 80523D52
	v_mul_lo_u32 v6, v5, s82                                   // 00000001068C: D2850006 0000A505
	v_readlane_b32 s82, v3, 13                                 // 000000010694: D2890052 00011B03
	s_lshr_b32 s61, s82, 24                                    // 00000001069C: 8F3D9852
	s_and_b32 s82, s82, 0xffffff                               // 0000000106A0: 8652FF52 00FFFFFF
	s_mul_i32 s82, s82, s71                                    // 0000000106A8: 92524752
	s_mul_i32 s61, s60, s61                                    // 0000000106AC: 923D3D3C
	s_add_u32 s82, s82, s61                                    // 0000000106B0: 80523D52
	v_mul_lo_u32 v7, v4, s82                                   // 0000000106B4: D2850007 0000A504
	v_add_u32_e32 v72, v6, v7                                  // 0000000106BC: 68900F06
	v_readlane_b32 s82, v3, 14                                 // 0000000106C0: D2890052 00011D03
	s_lshr_b32 s61, s82, 24                                    // 0000000106C8: 8F3D9852
	s_and_b32 s82, s82, 0xffffff                               // 0000000106CC: 8652FF52 00FFFFFF
	s_mul_i32 s82, s82, s71                                    // 0000000106D4: 92524752
	s_mul_i32 s61, s60, s61                                    // 0000000106D8: 923D3D3C
	s_add_u32 s82, s82, s61                                    // 0000000106DC: 80523D52
	v_mul_lo_u32 v6, v5, s82                                   // 0000000106E0: D2850006 0000A505
	v_readlane_b32 s82, v3, 15                                 // 0000000106E8: D2890052 00011F03
	s_lshr_b32 s61, s82, 24                                    // 0000000106F0: 8F3D9852
	s_and_b32 s82, s82, 0xffffff                               // 0000000106F4: 8652FF52 00FFFFFF
	s_mul_i32 s82, s82, s71                                    // 0000000106FC: 92524752
	s_mul_i32 s61, s60, s61                                    // 000000010700: 923D3D3C
	s_add_u32 s82, s82, s61                                    // 000000010704: 80523D52
	v_mul_lo_u32 v7, v4, s82                                   // 000000010708: D2850007 0000A504
	v_add_u32_e32 v73, v6, v7                                  // 000000010710: 68920F06
	v_readlane_b32 s82, v3, 16                                 // 000000010714: D2890052 00012103
	s_lshr_b32 s61, s82, 24                                    // 00000001071C: 8F3D9852
	s_and_b32 s82, s82, 0xffffff                               // 000000010720: 8652FF52 00FFFFFF
	s_mul_i32 s82, s82, s71                                    // 000000010728: 92524752
	s_mul_i32 s61, s60, s61                                    // 00000001072C: 923D3D3C
	s_add_u32 s82, s82, s61                                    // 000000010730: 80523D52
	v_mul_lo_u32 v6, v5, s82                                   // 000000010734: D2850006 0000A505
	v_readlane_b32 s82, v3, 17                                 // 00000001073C: D2890052 00012303
	s_lshr_b32 s61, s82, 24                                    // 000000010744: 8F3D9852
	s_and_b32 s82, s82, 0xffffff                               // 000000010748: 8652FF52 00FFFFFF
	s_mul_i32 s82, s82, s71                                    // 000000010750: 92524752
	s_mul_i32 s61, s60, s61                                    // 000000010754: 923D3D3C
	s_add_u32 s82, s82, s61                                    // 000000010758: 80523D52
	v_mul_lo_u32 v7, v4, s82                                   // 00000001075C: D2850007 0000A504
	v_add_u32_e32 v74, v6, v7                                  // 000000010764: 68940F06
	v_readlane_b32 s82, v3, 18                                 // 000000010768: D2890052 00012503
	s_lshr_b32 s61, s82, 24                                    // 000000010770: 8F3D9852
	s_and_b32 s82, s82, 0xffffff                               // 000000010774: 8652FF52 00FFFFFF
	s_mul_i32 s82, s82, s71                                    // 00000001077C: 92524752
	s_mul_i32 s61, s60, s61                                    // 000000010780: 923D3D3C
	s_add_u32 s82, s82, s61                                    // 000000010784: 80523D52
	v_mul_lo_u32 v6, v5, s82                                   // 000000010788: D2850006 0000A505
	v_readlane_b32 s82, v3, 19                                 // 000000010790: D2890052 00012703
	s_lshr_b32 s61, s82, 24                                    // 000000010798: 8F3D9852
	s_and_b32 s82, s82, 0xffffff                               // 00000001079C: 8652FF52 00FFFFFF
	s_mul_i32 s82, s82, s71                                    // 0000000107A4: 92524752
	s_mul_i32 s61, s60, s61                                    // 0000000107A8: 923D3D3C
	s_add_u32 s82, s82, s61                                    // 0000000107AC: 80523D52
	v_mul_lo_u32 v7, v4, s82                                   // 0000000107B0: D2850007 0000A504
	v_add_u32_e32 v75, v6, v7                                  // 0000000107B8: 68960F06
	v_readlane_b32 s82, v3, 20                                 // 0000000107BC: D2890052 00012903
	s_lshr_b32 s61, s82, 24                                    // 0000000107C4: 8F3D9852
	s_and_b32 s82, s82, 0xffffff                               // 0000000107C8: 8652FF52 00FFFFFF
	s_mul_i32 s82, s82, s71                                    // 0000000107D0: 92524752
	s_mul_i32 s61, s60, s61                                    // 0000000107D4: 923D3D3C
	s_add_u32 s82, s82, s61                                    // 0000000107D8: 80523D52
	v_mul_lo_u32 v6, v5, s82                                   // 0000000107DC: D2850006 0000A505
	v_readlane_b32 s82, v3, 21                                 // 0000000107E4: D2890052 00012B03
	s_lshr_b32 s61, s82, 24                                    // 0000000107EC: 8F3D9852
	s_and_b32 s82, s82, 0xffffff                               // 0000000107F0: 8652FF52 00FFFFFF
	s_mul_i32 s82, s82, s71                                    // 0000000107F8: 92524752
	s_mul_i32 s61, s60, s61                                    // 0000000107FC: 923D3D3C
	s_add_u32 s82, s82, s61                                    // 000000010800: 80523D52
	v_mul_lo_u32 v7, v4, s82                                   // 000000010804: D2850007 0000A504
	v_add_u32_e32 v76, v6, v7                                  // 00000001080C: 68980F06
	v_readlane_b32 s82, v3, 22                                 // 000000010810: D2890052 00012D03
	s_lshr_b32 s61, s82, 24                                    // 000000010818: 8F3D9852
	s_and_b32 s82, s82, 0xffffff                               // 00000001081C: 8652FF52 00FFFFFF
	s_mul_i32 s82, s82, s71                                    // 000000010824: 92524752
	s_mul_i32 s61, s60, s61                                    // 000000010828: 923D3D3C
	s_add_u32 s82, s82, s61                                    // 00000001082C: 80523D52
	v_mul_lo_u32 v6, v5, s82                                   // 000000010830: D2850006 0000A505
	v_readlane_b32 s82, v3, 23                                 // 000000010838: D2890052 00012F03
	s_lshr_b32 s61, s82, 24                                    // 000000010840: 8F3D9852
	s_and_b32 s82, s82, 0xffffff                               // 000000010844: 8652FF52 00FFFFFF
	s_mul_i32 s82, s82, s71                                    // 00000001084C: 92524752
	s_mul_i32 s61, s60, s61                                    // 000000010850: 923D3D3C
	s_add_u32 s82, s82, s61                                    // 000000010854: 80523D52
	v_mul_lo_u32 v7, v4, s82                                   // 000000010858: D2850007 0000A504
	v_add_u32_e32 v77, v6, v7                                  // 000000010860: 689A0F06
	v_readlane_b32 s82, v3, 24                                 // 000000010864: D2890052 00013103
	s_lshr_b32 s61, s82, 24                                    // 00000001086C: 8F3D9852
	s_and_b32 s82, s82, 0xffffff                               // 000000010870: 8652FF52 00FFFFFF
	s_mul_i32 s82, s82, s71                                    // 000000010878: 92524752
	s_mul_i32 s61, s60, s61                                    // 00000001087C: 923D3D3C
	s_add_u32 s82, s82, s61                                    // 000000010880: 80523D52
	v_mul_lo_u32 v6, v5, s82                                   // 000000010884: D2850006 0000A505
	v_readlane_b32 s82, v3, 25                                 // 00000001088C: D2890052 00013303
	s_lshr_b32 s61, s82, 24                                    // 000000010894: 8F3D9852
	s_and_b32 s82, s82, 0xffffff                               // 000000010898: 8652FF52 00FFFFFF
	s_mul_i32 s82, s82, s71                                    // 0000000108A0: 92524752
	s_mul_i32 s61, s60, s61                                    // 0000000108A4: 923D3D3C
	s_add_u32 s82, s82, s61                                    // 0000000108A8: 80523D52
	v_mul_lo_u32 v7, v4, s82                                   // 0000000108AC: D2850007 0000A504
	v_add_u32_e32 v78, v6, v7                                  // 0000000108B4: 689C0F06
	v_readlane_b32 s82, v3, 26                                 // 0000000108B8: D2890052 00013503
	s_lshr_b32 s61, s82, 24                                    // 0000000108C0: 8F3D9852
	s_and_b32 s82, s82, 0xffffff                               // 0000000108C4: 8652FF52 00FFFFFF
	s_mul_i32 s82, s82, s71                                    // 0000000108CC: 92524752
	s_mul_i32 s61, s60, s61                                    // 0000000108D0: 923D3D3C
	s_add_u32 s82, s82, s61                                    // 0000000108D4: 80523D52
	v_mul_lo_u32 v6, v5, s82                                   // 0000000108D8: D2850006 0000A505
	v_readlane_b32 s82, v3, 27                                 // 0000000108E0: D2890052 00013703
	s_lshr_b32 s61, s82, 24                                    // 0000000108E8: 8F3D9852
	s_and_b32 s82, s82, 0xffffff                               // 0000000108EC: 8652FF52 00FFFFFF
	s_mul_i32 s82, s82, s71                                    // 0000000108F4: 92524752
	s_mul_i32 s61, s60, s61                                    // 0000000108F8: 923D3D3C
	s_add_u32 s82, s82, s61                                    // 0000000108FC: 80523D52
	v_mul_lo_u32 v7, v4, s82                                   // 000000010900: D2850007 0000A504
	v_add_u32_e32 v79, v6, v7                                  // 000000010908: 689E0F06
	v_readlane_b32 s82, v3, 28                                 // 00000001090C: D2890052 00013903
	s_lshr_b32 s61, s82, 24                                    // 000000010914: 8F3D9852
	s_and_b32 s82, s82, 0xffffff                               // 000000010918: 8652FF52 00FFFFFF
	s_mul_i32 s82, s82, s71                                    // 000000010920: 92524752
	s_mul_i32 s61, s60, s61                                    // 000000010924: 923D3D3C
	s_add_u32 s82, s82, s61                                    // 000000010928: 80523D52
	v_mul_lo_u32 v6, v5, s82                                   // 00000001092C: D2850006 0000A505
	v_readlane_b32 s82, v3, 29                                 // 000000010934: D2890052 00013B03
	s_lshr_b32 s61, s82, 24                                    // 00000001093C: 8F3D9852
	s_and_b32 s82, s82, 0xffffff                               // 000000010940: 8652FF52 00FFFFFF
	s_mul_i32 s82, s82, s71                                    // 000000010948: 92524752
	s_mul_i32 s61, s60, s61                                    // 00000001094C: 923D3D3C
	s_add_u32 s82, s82, s61                                    // 000000010950: 80523D52
	v_mul_lo_u32 v7, v4, s82                                   // 000000010954: D2850007 0000A504
	v_add_u32_e32 v80, v6, v7                                  // 00000001095C: 68A00F06
	v_readlane_b32 s82, v3, 30                                 // 000000010960: D2890052 00013D03
	s_lshr_b32 s61, s82, 24                                    // 000000010968: 8F3D9852
	s_and_b32 s82, s82, 0xffffff                               // 00000001096C: 8652FF52 00FFFFFF
	s_mul_i32 s82, s82, s71                                    // 000000010974: 92524752
	s_mul_i32 s61, s60, s61                                    // 000000010978: 923D3D3C
	s_add_u32 s82, s82, s61                                    // 00000001097C: 80523D52
	v_mul_lo_u32 v6, v5, s82                                   // 000000010980: D2850006 0000A505
	v_readlane_b32 s82, v3, 31                                 // 000000010988: D2890052 00013F03
	s_lshr_b32 s61, s82, 24                                    // 000000010990: 8F3D9852
	s_and_b32 s82, s82, 0xffffff                               // 000000010994: 8652FF52 00FFFFFF
	s_mul_i32 s82, s82, s71                                    // 00000001099C: 92524752
	s_mul_i32 s61, s60, s61                                    // 0000000109A0: 923D3D3C
	s_add_u32 s82, s82, s61                                    // 0000000109A4: 80523D52
	v_mul_lo_u32 v7, v4, s82                                   // 0000000109A8: D2850007 0000A504
	v_add_u32_e32 v81, v6, v7                                  // 0000000109B0: 68A20F06
	v_readlane_b32 s82, v3, 32                                 // 0000000109B4: D2890052 00014103
	s_lshr_b32 s61, s82, 24                                    // 0000000109BC: 8F3D9852
	s_and_b32 s82, s82, 0xffffff                               // 0000000109C0: 8652FF52 00FFFFFF
	s_mul_i32 s82, s82, s71                                    // 0000000109C8: 92524752
	s_mul_i32 s61, s60, s61                                    // 0000000109CC: 923D3D3C
	s_add_u32 s82, s82, s61                                    // 0000000109D0: 80523D52
	v_mul_lo_u32 v6, v5, s82                                   // 0000000109D4: D2850006 0000A505
	v_readlane_b32 s82, v3, 33                                 // 0000000109DC: D2890052 00014303
	s_lshr_b32 s61, s82, 24                                    // 0000000109E4: 8F3D9852
	s_and_b32 s82, s82, 0xffffff                               // 0000000109E8: 8652FF52 00FFFFFF
	s_mul_i32 s82, s82, s71                                    // 0000000109F0: 92524752
	s_mul_i32 s61, s60, s61                                    // 0000000109F4: 923D3D3C
	s_add_u32 s82, s82, s61                                    // 0000000109F8: 80523D52
	v_mul_lo_u32 v7, v4, s82                                   // 0000000109FC: D2850007 0000A504
	v_add_u32_e32 v82, v6, v7                                  // 000000010A04: 68A40F06
	v_readlane_b32 s82, v3, 34                                 // 000000010A08: D2890052 00014503
	s_lshr_b32 s61, s82, 24                                    // 000000010A10: 8F3D9852
	s_and_b32 s82, s82, 0xffffff                               // 000000010A14: 8652FF52 00FFFFFF
	s_mul_i32 s82, s82, s71                                    // 000000010A1C: 92524752
	s_mul_i32 s61, s60, s61                                    // 000000010A20: 923D3D3C
	s_add_u32 s82, s82, s61                                    // 000000010A24: 80523D52
	v_mul_lo_u32 v6, v5, s82                                   // 000000010A28: D2850006 0000A505
	v_readlane_b32 s82, v3, 35                                 // 000000010A30: D2890052 00014703
	s_lshr_b32 s61, s82, 24                                    // 000000010A38: 8F3D9852
	s_and_b32 s82, s82, 0xffffff                               // 000000010A3C: 8652FF52 00FFFFFF
	s_mul_i32 s82, s82, s71                                    // 000000010A44: 92524752
	s_mul_i32 s61, s60, s61                                    // 000000010A48: 923D3D3C
	s_add_u32 s82, s82, s61                                    // 000000010A4C: 80523D52
	v_mul_lo_u32 v7, v4, s82                                   // 000000010A50: D2850007 0000A504
	v_add_u32_e32 v83, v6, v7                                  // 000000010A58: 68A60F06
	v_and_b32_e32 v4, 31, v0                                   // 000000010A5C: 2608009F
	v_lshrrev_b32_e32 v4, 1, v4                                // 000000010A60: 20080881
	s_cmp_eq_u32 s88, 0                                        // 000000010A64: BF068058
	s_cselect_b32 s61, 2, 4                                    // 000000010A68: 853D8482
	v_mul_lo_u32 v4, v4, s61                                   // 000000010A6C: D2850004 00007B04
	v_and_b32_e64 v5, v0, 1                                    // 000000010A74: D1130005 00010300
	v_add_u32_e32 v4, v4, v5                                   // 000000010A7C: 68080B04
	v_lshlrev_b32_e32 v4, 2, v4                                // 000000010A80: 24080882
	v_add_u32_e32 v66, v66, v4                                 // 000000010A84: 68840942
	v_add_u32_e32 v67, v67, v4                                 // 000000010A88: 68860943
	v_add_u32_e32 v68, v68, v4                                 // 000000010A8C: 68880944
	v_add_u32_e32 v69, v69, v4                                 // 000000010A90: 688A0945
	v_add_u32_e32 v70, v70, v4                                 // 000000010A94: 688C0946
	v_add_u32_e32 v71, v71, v4                                 // 000000010A98: 688E0947
	v_add_u32_e32 v72, v72, v4                                 // 000000010A9C: 68900948
	v_add_u32_e32 v73, v73, v4                                 // 000000010AA0: 68920949
	v_add_u32_e32 v74, v74, v4                                 // 000000010AA4: 6894094A
	v_add_u32_e32 v75, v75, v4                                 // 000000010AA8: 6896094B
	v_add_u32_e32 v76, v76, v4                                 // 000000010AAC: 6898094C
	v_add_u32_e32 v77, v77, v4                                 // 000000010AB0: 689A094D
	v_add_u32_e32 v78, v78, v4                                 // 000000010AB4: 689C094E
	v_add_u32_e32 v79, v79, v4                                 // 000000010AB8: 689E094F
	v_add_u32_e32 v80, v80, v4                                 // 000000010ABC: 68A00950
	v_add_u32_e32 v81, v81, v4                                 // 000000010AC0: 68A20951
	v_add_u32_e32 v82, v82, v4                                 // 000000010AC4: 68A40952
	v_add_u32_e32 v83, v83, v4                                 // 000000010AC8: 68A60953
	s_waitcnt lgkmcnt(0)                                       // 000000010ACC: BF8CC07F
	s_barrier                                                  // 000000010AD0: BF8A0000
	ds_read_b32 v88, v21                                       // 000000010AD4: D86C0000 58000015
	ds_read_b32 v89, v21 offset:64                             // 000000010ADC: D86C0040 59000015
	ds_read_b32 v90, v21 offset:2176                           // 000000010AE4: D86C0880 5A000015
	ds_read_b32 v91, v21 offset:2240                           // 000000010AEC: D86C08C0 5B000015
	ds_read_b32 v92, v21 offset:4352                           // 000000010AF4: D86C1100 5C000015
	ds_read_b32 v93, v21 offset:4416                           // 000000010AFC: D86C1140 5D000015
	ds_read_b32 v94, v21 offset:6528                           // 000000010B04: D86C1980 5E000015
	ds_read_b32 v95, v21 offset:6592                           // 000000010B0C: D86C19C0 5F000015
	ds_read_b32 v96, v21 offset:8704                           // 000000010B14: D86C2200 60000015
	ds_read_b32 v97, v21 offset:8768                           // 000000010B1C: D86C2240 61000015
	ds_read_b32 v98, v21 offset:10880                          // 000000010B24: D86C2A80 62000015
	ds_read_b32 v99, v21 offset:10944                          // 000000010B2C: D86C2AC0 63000015
	ds_read_b32 v100, v21 offset:13056                         // 000000010B34: D86C3300 64000015
	ds_read_b32 v101, v21 offset:13120                         // 000000010B3C: D86C3340 65000015
	ds_read_b32 v102, v21 offset:15232                         // 000000010B44: D86C3B80 66000015
	ds_read_b32 v103, v21 offset:15296                         // 000000010B4C: D86C3BC0 67000015
	ds_read_b32 v104, v21 offset:17408                         // 000000010B54: D86C4400 68000015
	ds_read_b32 v105, v21 offset:17472                         // 000000010B5C: D86C4440 69000015
	ds_read_b32 v106, v21 offset:19584                         // 000000010B64: D86C4C80 6A000015
	ds_read_b32 v107, v21 offset:19648                         // 000000010B6C: D86C4CC0 6B000015
	ds_read_b32 v108, v21 offset:21760                         // 000000010B74: D86C5500 6C000015
	ds_read_b32 v109, v21 offset:21824                         // 000000010B7C: D86C5540 6D000015
	ds_read_b32 v110, v21 offset:23936                         // 000000010B84: D86C5D80 6E000015
	ds_read_b32 v111, v21 offset:24000                         // 000000010B8C: D86C5DC0 6F000015
	ds_read_b32 v112, v21 offset:26112                         // 000000010B94: D86C6600 70000015
	ds_read_b32 v113, v21 offset:26176                         // 000000010B9C: D86C6640 71000015
	ds_read_b32 v114, v21 offset:28288                         // 000000010BA4: D86C6E80 72000015
	ds_read_b32 v115, v21 offset:28352                         // 000000010BAC: D86C6EC0 73000015
	ds_read_b32 v116, v21 offset:30464                         // 000000010BB4: D86C7700 74000015
	ds_read_b32 v117, v21 offset:30528                         // 000000010BBC: D86C7740 75000015
	ds_read_b32 v118, v21 offset:32640                         // 000000010BC4: D86C7F80 76000015
	ds_read_b32 v119, v21 offset:32704                         // 000000010BCC: D86C7FC0 77000015
	ds_read_b32 v120, v21 offset:34816                         // 000000010BD4: D86C8800 78000015
	ds_read_b32 v121, v21 offset:34880                         // 000000010BDC: D86C8840 79000015
	ds_read_b32 v122, v21 offset:36992                         // 000000010BE4: D86C9080 7A000015
	ds_read_b32 v123, v21 offset:37056                         // 000000010BEC: D86C90C0 7B000015
	s_waitcnt lgkmcnt(0)                                       // 000000010BF4: BF8CC07F
	s_mov_b32 s36, -1                                          // 000000010BF8: BEA400C1
	s_mov_b32 s37, -1                                          // 000000010BFC: BEA500C1
	v_mov_b32_e32 v7, 0                                        // 000000010C00: 7E0E0280
	s_or_b32 s9, s9, 0x40000                                   // 000000010C04: 8709FF09 00040000
	s_mov_b64 exec, s[36:37]                                   // 000000010C0C: BEFE0124
	v_mov_b32_e32 v6, v66                                      // 000000010C10: 7E0C0342
	s_mov_b64 s[60:61], 0                                      // 000000010C14: BEBC0180
	v_readlane_b32 s82, v3, 0                                  // 000000010C18: D2890052 00010103
	s_and_b32 s82, s82, 0xffffff                               // 000000010C20: 8652FF52 00FFFFFF
	s_cmp_lt_u32 s82, s66                                      // 000000010C28: BF0A4252
	s_cselect_b32 s20, s36, s60                                // 000000010C2C: 85143C24
	v_readlane_b32 s82, v3, 1                                  // 000000010C30: D2890052 00010303
	s_and_b32 s82, s82, 0xffffff                               // 000000010C38: 8652FF52 00FFFFFF
	s_cmp_lt_u32 s82, s66                                      // 000000010C40: BF0A4252
	s_cselect_b32 s21, s36, s60                                // 000000010C44: 85153C24
	s_mov_b64 exec, s[20:21]                                   // 000000010C48: BEFE0114
	buffer_store_dword v88, v6, s[8:11], 0 offen               // 000000010C4C: E0701000 80025806
	buffer_store_dword v90, v6, s[8:11], 0 offen offset:128    // 000000010C54: E0701080 80025A06
	s_mov_b64 exec, s[36:37]                                   // 000000010C5C: BEFE0124
	v_mov_b32_e32 v6, v67                                      // 000000010C60: 7E0C0343
	s_mov_b64 s[60:61], 0                                      // 000000010C64: BEBC0180
	v_readlane_b32 s82, v3, 2                                  // 000000010C68: D2890052 00010503
	s_and_b32 s82, s82, 0xffffff                               // 000000010C70: 8652FF52 00FFFFFF
	s_cmp_lt_u32 s82, s66                                      // 000000010C78: BF0A4252
	s_cselect_b32 s20, s36, s60                                // 000000010C7C: 85143C24
	v_readlane_b32 s82, v3, 3                                  // 000000010C80: D2890052 00010703
	s_and_b32 s82, s82, 0xffffff                               // 000000010C88: 8652FF52 00FFFFFF
	s_cmp_lt_u32 s82, s66                                      // 000000010C90: BF0A4252
	s_cselect_b32 s21, s36, s60                                // 000000010C94: 85153C24
	s_mov_b64 exec, s[20:21]                                   // 000000010C98: BEFE0114
	buffer_store_dword v89, v6, s[8:11], 0 offen               // 000000010C9C: E0701000 80025906
	buffer_store_dword v91, v6, s[8:11], 0 offen offset:128    // 000000010CA4: E0701080 80025B06
	s_mov_b64 exec, s[36:37]                                   // 000000010CAC: BEFE0124
	v_mov_b32_e32 v6, v68                                      // 000000010CB0: 7E0C0344
	s_mov_b64 s[60:61], 0                                      // 000000010CB4: BEBC0180
	v_readlane_b32 s82, v3, 4                                  // 000000010CB8: D2890052 00010903
	s_and_b32 s82, s82, 0xffffff                               // 000000010CC0: 8652FF52 00FFFFFF
	s_cmp_lt_u32 s82, s66                                      // 000000010CC8: BF0A4252
	s_cselect_b32 s20, s36, s60                                // 000000010CCC: 85143C24
	v_readlane_b32 s82, v3, 5                                  // 000000010CD0: D2890052 00010B03
	s_and_b32 s82, s82, 0xffffff                               // 000000010CD8: 8652FF52 00FFFFFF
	s_cmp_lt_u32 s82, s66                                      // 000000010CE0: BF0A4252
	s_cselect_b32 s21, s36, s60                                // 000000010CE4: 85153C24
	s_mov_b64 exec, s[20:21]                                   // 000000010CE8: BEFE0114
	buffer_store_dword v92, v6, s[8:11], 0 offen               // 000000010CEC: E0701000 80025C06
	buffer_store_dword v94, v6, s[8:11], 0 offen offset:128    // 000000010CF4: E0701080 80025E06
	s_mov_b64 exec, s[36:37]                                   // 000000010CFC: BEFE0124
	v_mov_b32_e32 v6, v69                                      // 000000010D00: 7E0C0345
	s_mov_b64 s[60:61], 0                                      // 000000010D04: BEBC0180
	v_readlane_b32 s82, v3, 6                                  // 000000010D08: D2890052 00010D03
	s_and_b32 s82, s82, 0xffffff                               // 000000010D10: 8652FF52 00FFFFFF
	s_cmp_lt_u32 s82, s66                                      // 000000010D18: BF0A4252
	s_cselect_b32 s20, s36, s60                                // 000000010D1C: 85143C24
	v_readlane_b32 s82, v3, 7                                  // 000000010D20: D2890052 00010F03
	s_and_b32 s82, s82, 0xffffff                               // 000000010D28: 8652FF52 00FFFFFF
	s_cmp_lt_u32 s82, s66                                      // 000000010D30: BF0A4252
	s_cselect_b32 s21, s36, s60                                // 000000010D34: 85153C24
	s_mov_b64 exec, s[20:21]                                   // 000000010D38: BEFE0114
	buffer_store_dword v93, v6, s[8:11], 0 offen               // 000000010D3C: E0701000 80025D06
	buffer_store_dword v95, v6, s[8:11], 0 offen offset:128    // 000000010D44: E0701080 80025F06
	s_mov_b64 exec, s[36:37]                                   // 000000010D4C: BEFE0124
	v_mov_b32_e32 v6, v70                                      // 000000010D50: 7E0C0346
	s_mov_b64 s[60:61], 0                                      // 000000010D54: BEBC0180
	v_readlane_b32 s82, v3, 8                                  // 000000010D58: D2890052 00011103
	s_and_b32 s82, s82, 0xffffff                               // 000000010D60: 8652FF52 00FFFFFF
	s_cmp_lt_u32 s82, s66                                      // 000000010D68: BF0A4252
	s_cselect_b32 s20, s36, s60                                // 000000010D6C: 85143C24
	v_readlane_b32 s82, v3, 9                                  // 000000010D70: D2890052 00011303
	s_and_b32 s82, s82, 0xffffff                               // 000000010D78: 8652FF52 00FFFFFF
	s_cmp_lt_u32 s82, s66                                      // 000000010D80: BF0A4252
	s_cselect_b32 s21, s36, s60                                // 000000010D84: 85153C24
	s_mov_b64 exec, s[20:21]                                   // 000000010D88: BEFE0114
	buffer_store_dword v96, v6, s[8:11], 0 offen               // 000000010D8C: E0701000 80026006
	buffer_store_dword v98, v6, s[8:11], 0 offen offset:128    // 000000010D94: E0701080 80026206
	s_mov_b64 exec, s[36:37]                                   // 000000010D9C: BEFE0124
	v_mov_b32_e32 v6, v71                                      // 000000010DA0: 7E0C0347
	s_mov_b64 s[60:61], 0                                      // 000000010DA4: BEBC0180
	v_readlane_b32 s82, v3, 10                                 // 000000010DA8: D2890052 00011503
	s_and_b32 s82, s82, 0xffffff                               // 000000010DB0: 8652FF52 00FFFFFF
	s_cmp_lt_u32 s82, s66                                      // 000000010DB8: BF0A4252
	s_cselect_b32 s20, s36, s60                                // 000000010DBC: 85143C24
	v_readlane_b32 s82, v3, 11                                 // 000000010DC0: D2890052 00011703
	s_and_b32 s82, s82, 0xffffff                               // 000000010DC8: 8652FF52 00FFFFFF
	s_cmp_lt_u32 s82, s66                                      // 000000010DD0: BF0A4252
	s_cselect_b32 s21, s36, s60                                // 000000010DD4: 85153C24
	s_mov_b64 exec, s[20:21]                                   // 000000010DD8: BEFE0114
	buffer_store_dword v97, v6, s[8:11], 0 offen               // 000000010DDC: E0701000 80026106
	buffer_store_dword v99, v6, s[8:11], 0 offen offset:128    // 000000010DE4: E0701080 80026306
	s_mov_b64 exec, s[36:37]                                   // 000000010DEC: BEFE0124
	v_mov_b32_e32 v6, v72                                      // 000000010DF0: 7E0C0348
	s_mov_b64 s[60:61], 0                                      // 000000010DF4: BEBC0180
	v_readlane_b32 s82, v3, 12                                 // 000000010DF8: D2890052 00011903
	s_and_b32 s82, s82, 0xffffff                               // 000000010E00: 8652FF52 00FFFFFF
	s_cmp_lt_u32 s82, s66                                      // 000000010E08: BF0A4252
	s_cselect_b32 s20, s36, s60                                // 000000010E0C: 85143C24
	v_readlane_b32 s82, v3, 13                                 // 000000010E10: D2890052 00011B03
	s_and_b32 s82, s82, 0xffffff                               // 000000010E18: 8652FF52 00FFFFFF
	s_cmp_lt_u32 s82, s66                                      // 000000010E20: BF0A4252
	s_cselect_b32 s21, s36, s60                                // 000000010E24: 85153C24
	s_mov_b64 exec, s[20:21]                                   // 000000010E28: BEFE0114
	buffer_store_dword v100, v6, s[8:11], 0 offen              // 000000010E2C: E0701000 80026406
	buffer_store_dword v102, v6, s[8:11], 0 offen offset:128   // 000000010E34: E0701080 80026606
	s_mov_b64 exec, s[36:37]                                   // 000000010E3C: BEFE0124
	v_mov_b32_e32 v6, v73                                      // 000000010E40: 7E0C0349
	s_mov_b64 s[60:61], 0                                      // 000000010E44: BEBC0180
	v_readlane_b32 s82, v3, 14                                 // 000000010E48: D2890052 00011D03
	s_and_b32 s82, s82, 0xffffff                               // 000000010E50: 8652FF52 00FFFFFF
	s_cmp_lt_u32 s82, s66                                      // 000000010E58: BF0A4252
	s_cselect_b32 s20, s36, s60                                // 000000010E5C: 85143C24
	v_readlane_b32 s82, v3, 15                                 // 000000010E60: D2890052 00011F03
	s_and_b32 s82, s82, 0xffffff                               // 000000010E68: 8652FF52 00FFFFFF
	s_cmp_lt_u32 s82, s66                                      // 000000010E70: BF0A4252
	s_cselect_b32 s21, s36, s60                                // 000000010E74: 85153C24
	s_mov_b64 exec, s[20:21]                                   // 000000010E78: BEFE0114
	buffer_store_dword v101, v6, s[8:11], 0 offen              // 000000010E7C: E0701000 80026506
	buffer_store_dword v103, v6, s[8:11], 0 offen offset:128   // 000000010E84: E0701080 80026706
	s_mov_b64 exec, s[36:37]                                   // 000000010E8C: BEFE0124
	v_mov_b32_e32 v6, v74                                      // 000000010E90: 7E0C034A
	s_mov_b64 s[60:61], 0                                      // 000000010E94: BEBC0180
	v_readlane_b32 s82, v3, 16                                 // 000000010E98: D2890052 00012103
	s_and_b32 s82, s82, 0xffffff                               // 000000010EA0: 8652FF52 00FFFFFF
	s_cmp_lt_u32 s82, s66                                      // 000000010EA8: BF0A4252
	s_cselect_b32 s20, s36, s60                                // 000000010EAC: 85143C24
	v_readlane_b32 s82, v3, 17                                 // 000000010EB0: D2890052 00012303
	s_and_b32 s82, s82, 0xffffff                               // 000000010EB8: 8652FF52 00FFFFFF
	s_cmp_lt_u32 s82, s66                                      // 000000010EC0: BF0A4252
	s_cselect_b32 s21, s36, s60                                // 000000010EC4: 85153C24
	s_mov_b64 exec, s[20:21]                                   // 000000010EC8: BEFE0114
	buffer_store_dword v104, v6, s[8:11], 0 offen              // 000000010ECC: E0701000 80026806
	buffer_store_dword v106, v6, s[8:11], 0 offen offset:128   // 000000010ED4: E0701080 80026A06
	s_mov_b64 exec, s[36:37]                                   // 000000010EDC: BEFE0124
	v_mov_b32_e32 v6, v75                                      // 000000010EE0: 7E0C034B
	s_mov_b64 s[60:61], 0                                      // 000000010EE4: BEBC0180
	v_readlane_b32 s82, v3, 18                                 // 000000010EE8: D2890052 00012503
	s_and_b32 s82, s82, 0xffffff                               // 000000010EF0: 8652FF52 00FFFFFF
	s_cmp_lt_u32 s82, s66                                      // 000000010EF8: BF0A4252
	s_cselect_b32 s20, s36, s60                                // 000000010EFC: 85143C24
	v_readlane_b32 s82, v3, 19                                 // 000000010F00: D2890052 00012703
	s_and_b32 s82, s82, 0xffffff                               // 000000010F08: 8652FF52 00FFFFFF
	s_cmp_lt_u32 s82, s66                                      // 000000010F10: BF0A4252
	s_cselect_b32 s21, s36, s60                                // 000000010F14: 85153C24
	s_mov_b64 exec, s[20:21]                                   // 000000010F18: BEFE0114
	buffer_store_dword v105, v6, s[8:11], 0 offen              // 000000010F1C: E0701000 80026906
	buffer_store_dword v107, v6, s[8:11], 0 offen offset:128   // 000000010F24: E0701080 80026B06
	s_mov_b64 exec, s[36:37]                                   // 000000010F2C: BEFE0124
	v_mov_b32_e32 v6, v76                                      // 000000010F30: 7E0C034C
	s_mov_b64 s[60:61], 0                                      // 000000010F34: BEBC0180
	v_readlane_b32 s82, v3, 20                                 // 000000010F38: D2890052 00012903
	s_and_b32 s82, s82, 0xffffff                               // 000000010F40: 8652FF52 00FFFFFF
	s_cmp_lt_u32 s82, s66                                      // 000000010F48: BF0A4252
	s_cselect_b32 s20, s36, s60                                // 000000010F4C: 85143C24
	v_readlane_b32 s82, v3, 21                                 // 000000010F50: D2890052 00012B03
	s_and_b32 s82, s82, 0xffffff                               // 000000010F58: 8652FF52 00FFFFFF
	s_cmp_lt_u32 s82, s66                                      // 000000010F60: BF0A4252
	s_cselect_b32 s21, s36, s60                                // 000000010F64: 85153C24
	s_mov_b64 exec, s[20:21]                                   // 000000010F68: BEFE0114
	buffer_store_dword v108, v6, s[8:11], 0 offen              // 000000010F6C: E0701000 80026C06
	buffer_store_dword v110, v6, s[8:11], 0 offen offset:128   // 000000010F74: E0701080 80026E06
	s_mov_b64 exec, s[36:37]                                   // 000000010F7C: BEFE0124
	v_mov_b32_e32 v6, v77                                      // 000000010F80: 7E0C034D
	s_mov_b64 s[60:61], 0                                      // 000000010F84: BEBC0180
	v_readlane_b32 s82, v3, 22                                 // 000000010F88: D2890052 00012D03
	s_and_b32 s82, s82, 0xffffff                               // 000000010F90: 8652FF52 00FFFFFF
	s_cmp_lt_u32 s82, s66                                      // 000000010F98: BF0A4252
	s_cselect_b32 s20, s36, s60                                // 000000010F9C: 85143C24
	v_readlane_b32 s82, v3, 23                                 // 000000010FA0: D2890052 00012F03
	s_and_b32 s82, s82, 0xffffff                               // 000000010FA8: 8652FF52 00FFFFFF
	s_cmp_lt_u32 s82, s66                                      // 000000010FB0: BF0A4252
	s_cselect_b32 s21, s36, s60                                // 000000010FB4: 85153C24
	s_mov_b64 exec, s[20:21]                                   // 000000010FB8: BEFE0114
	buffer_store_dword v109, v6, s[8:11], 0 offen              // 000000010FBC: E0701000 80026D06
	buffer_store_dword v111, v6, s[8:11], 0 offen offset:128   // 000000010FC4: E0701080 80026F06
	s_mov_b64 exec, s[36:37]                                   // 000000010FCC: BEFE0124
	v_mov_b32_e32 v6, v78                                      // 000000010FD0: 7E0C034E
	s_mov_b64 s[60:61], 0                                      // 000000010FD4: BEBC0180
	v_readlane_b32 s82, v3, 24                                 // 000000010FD8: D2890052 00013103
	s_and_b32 s82, s82, 0xffffff                               // 000000010FE0: 8652FF52 00FFFFFF
	s_cmp_lt_u32 s82, s66                                      // 000000010FE8: BF0A4252
	s_cselect_b32 s20, s36, s60                                // 000000010FEC: 85143C24
	v_readlane_b32 s82, v3, 25                                 // 000000010FF0: D2890052 00013303
	s_and_b32 s82, s82, 0xffffff                               // 000000010FF8: 8652FF52 00FFFFFF
	s_cmp_lt_u32 s82, s66                                      // 000000011000: BF0A4252
	s_cselect_b32 s21, s36, s60                                // 000000011004: 85153C24
	s_mov_b64 exec, s[20:21]                                   // 000000011008: BEFE0114
	buffer_store_dword v112, v6, s[8:11], 0 offen              // 00000001100C: E0701000 80027006
	buffer_store_dword v114, v6, s[8:11], 0 offen offset:128   // 000000011014: E0701080 80027206
	s_mov_b64 exec, s[36:37]                                   // 00000001101C: BEFE0124
	v_mov_b32_e32 v6, v79                                      // 000000011020: 7E0C034F
	s_mov_b64 s[60:61], 0                                      // 000000011024: BEBC0180
	v_readlane_b32 s82, v3, 26                                 // 000000011028: D2890052 00013503
	s_and_b32 s82, s82, 0xffffff                               // 000000011030: 8652FF52 00FFFFFF
	s_cmp_lt_u32 s82, s66                                      // 000000011038: BF0A4252
	s_cselect_b32 s20, s36, s60                                // 00000001103C: 85143C24
	v_readlane_b32 s82, v3, 27                                 // 000000011040: D2890052 00013703
	s_and_b32 s82, s82, 0xffffff                               // 000000011048: 8652FF52 00FFFFFF
	s_cmp_lt_u32 s82, s66                                      // 000000011050: BF0A4252
	s_cselect_b32 s21, s36, s60                                // 000000011054: 85153C24
	s_mov_b64 exec, s[20:21]                                   // 000000011058: BEFE0114
	buffer_store_dword v113, v6, s[8:11], 0 offen              // 00000001105C: E0701000 80027106
	buffer_store_dword v115, v6, s[8:11], 0 offen offset:128   // 000000011064: E0701080 80027306
	s_mov_b64 exec, s[36:37]                                   // 00000001106C: BEFE0124
	v_mov_b32_e32 v6, v80                                      // 000000011070: 7E0C0350
	s_mov_b64 s[60:61], 0                                      // 000000011074: BEBC0180
	v_readlane_b32 s82, v3, 28                                 // 000000011078: D2890052 00013903
	s_and_b32 s82, s82, 0xffffff                               // 000000011080: 8652FF52 00FFFFFF
	s_cmp_lt_u32 s82, s66                                      // 000000011088: BF0A4252
	s_cselect_b32 s20, s36, s60                                // 00000001108C: 85143C24
	v_readlane_b32 s82, v3, 29                                 // 000000011090: D2890052 00013B03
	s_and_b32 s82, s82, 0xffffff                               // 000000011098: 8652FF52 00FFFFFF
	s_cmp_lt_u32 s82, s66                                      // 0000000110A0: BF0A4252
	s_cselect_b32 s21, s36, s60                                // 0000000110A4: 85153C24
	s_mov_b64 exec, s[20:21]                                   // 0000000110A8: BEFE0114
	buffer_store_dword v116, v6, s[8:11], 0 offen              // 0000000110AC: E0701000 80027406
	buffer_store_dword v118, v6, s[8:11], 0 offen offset:128   // 0000000110B4: E0701080 80027606
	s_mov_b64 exec, s[36:37]                                   // 0000000110BC: BEFE0124
	v_mov_b32_e32 v6, v81                                      // 0000000110C0: 7E0C0351
	s_mov_b64 s[60:61], 0                                      // 0000000110C4: BEBC0180
	v_readlane_b32 s82, v3, 30                                 // 0000000110C8: D2890052 00013D03
	s_and_b32 s82, s82, 0xffffff                               // 0000000110D0: 8652FF52 00FFFFFF
	s_cmp_lt_u32 s82, s66                                      // 0000000110D8: BF0A4252
	s_cselect_b32 s20, s36, s60                                // 0000000110DC: 85143C24
	v_readlane_b32 s82, v3, 31                                 // 0000000110E0: D2890052 00013F03
	s_and_b32 s82, s82, 0xffffff                               // 0000000110E8: 8652FF52 00FFFFFF
	s_cmp_lt_u32 s82, s66                                      // 0000000110F0: BF0A4252
	s_cselect_b32 s21, s36, s60                                // 0000000110F4: 85153C24
	s_mov_b64 exec, s[20:21]                                   // 0000000110F8: BEFE0114
	buffer_store_dword v117, v6, s[8:11], 0 offen              // 0000000110FC: E0701000 80027506
	buffer_store_dword v119, v6, s[8:11], 0 offen offset:128   // 000000011104: E0701080 80027706
	s_mov_b64 exec, s[36:37]                                   // 00000001110C: BEFE0124
	v_mov_b32_e32 v6, v82                                      // 000000011110: 7E0C0352
	s_mov_b64 s[60:61], 0                                      // 000000011114: BEBC0180
	v_readlane_b32 s82, v3, 32                                 // 000000011118: D2890052 00014103
	s_and_b32 s82, s82, 0xffffff                               // 000000011120: 8652FF52 00FFFFFF
	s_cmp_lt_u32 s82, s66                                      // 000000011128: BF0A4252
	s_cselect_b32 s20, s36, s60                                // 00000001112C: 85143C24
	v_readlane_b32 s82, v3, 33                                 // 000000011130: D2890052 00014303
	s_and_b32 s82, s82, 0xffffff                               // 000000011138: 8652FF52 00FFFFFF
	s_cmp_lt_u32 s82, s66                                      // 000000011140: BF0A4252
	s_cselect_b32 s21, s36, s60                                // 000000011144: 85153C24
	s_mov_b64 exec, s[20:21]                                   // 000000011148: BEFE0114
	buffer_store_dword v120, v6, s[8:11], 0 offen              // 00000001114C: E0701000 80027806
	buffer_store_dword v122, v6, s[8:11], 0 offen offset:128   // 000000011154: E0701080 80027A06
	s_mov_b64 exec, s[36:37]                                   // 00000001115C: BEFE0124
	v_mov_b32_e32 v6, v83                                      // 000000011160: 7E0C0353
	s_mov_b64 s[60:61], 0                                      // 000000011164: BEBC0180
	v_readlane_b32 s82, v3, 34                                 // 000000011168: D2890052 00014503
	s_and_b32 s82, s82, 0xffffff                               // 000000011170: 8652FF52 00FFFFFF
	s_cmp_lt_u32 s82, s66                                      // 000000011178: BF0A4252
	s_cselect_b32 s20, s36, s60                                // 00000001117C: 85143C24
	v_readlane_b32 s82, v3, 35                                 // 000000011180: D2890052 00014703
	s_and_b32 s82, s82, 0xffffff                               // 000000011188: 8652FF52 00FFFFFF
	s_cmp_lt_u32 s82, s66                                      // 000000011190: BF0A4252
	s_cselect_b32 s21, s36, s60                                // 000000011194: 85153C24
	s_mov_b64 exec, s[20:21]                                   // 000000011198: BEFE0114
	buffer_store_dword v121, v6, s[8:11], 0 offen              // 00000001119C: E0701000 80027906
	buffer_store_dword v123, v6, s[8:11], 0 offen offset:128   // 0000000111A4: E0701080 80027B06
	s_mov_b64 exec, s[36:37]                                   // 0000000111AC: BEFE0124
	s_branch label_42F6                                        // 0000000111B0: BF820906

00000000000111b4 <label_39F0>:
	ds_write_b64 v20, v[88:89]                                 // 0000000111B4: D89A0000 00005814
	ds_write_b64 v20, v[92:93] offset:4352                     // 0000000111BC: D89A1100 00005C14
	ds_write_b64 v20, v[96:97] offset:8704                     // 0000000111C4: D89A2200 00006014
	ds_write_b64 v20, v[100:101] offset:13056                  // 0000000111CC: D89A3300 00006414
	ds_write_b64 v20, v[104:105] offset:17408                  // 0000000111D4: D89A4400 00006814
	ds_write_b64 v20, v[108:109] offset:21760                  // 0000000111DC: D89A5500 00006C14
	ds_write_b64 v20, v[112:113] offset:26112                  // 0000000111E4: D89A6600 00007014
	ds_write_b64 v20, v[116:117] offset:30464                  // 0000000111EC: D89A7700 00007414
	ds_write_b64 v20, v[120:121] offset:34816                  // 0000000111F4: D89A8800 00007814
	ds_write_b64 v20, v[124:125] offset:2176                   // 0000000111FC: D89A0880 00007C14
	ds_write_b64 v20, v[128:129] offset:6528                   // 000000011204: D89A1980 00008014
	ds_write_b64 v20, v[132:133] offset:10880                  // 00000001120C: D89A2A80 00008414
	ds_write_b64 v20, v[136:137] offset:15232                  // 000000011214: D89A3B80 00008814
	ds_write_b64 v20, v[140:141] offset:19584                  // 00000001121C: D89A4C80 00008C14
	ds_write_b64 v20, v[144:145] offset:23936                  // 000000011224: D89A5D80 00009014
	ds_write_b64 v20, v[148:149] offset:28288                  // 00000001122C: D89A6E80 00009414
	ds_write_b64 v20, v[152:153] offset:32640                  // 000000011234: D89A7F80 00009814
	ds_write_b64 v20, v[156:157] offset:36992                  // 00000001123C: D89A9080 00009C14
	v_lshrrev_b32_e32 v4, 5, v0                                // 000000011244: 20080085
	v_xor_b32_e32 v5, 1, v4                                    // 000000011248: 2A0A0881
	s_mul_i32 s60, s65, 2                                      // 00000001124C: 923C8241
	s_cmp_eq_u32 s88, 0                                        // 000000011250: BF068058
	s_cselect_b32 s61, 1, 4                                    // 000000011254: 853D8481
	s_mul_i32 s60, s61, s60                                    // 000000011258: 923C3C3D
	v_readlane_b32 s82, v3, 0                                  // 00000001125C: D2890052 00010103
	s_lshr_b32 s61, s82, 24                                    // 000000011264: 8F3D9852
	s_and_b32 s82, s82, 0xffffff                               // 000000011268: 8652FF52 00FFFFFF
	s_mul_i32 s82, s82, s71                                    // 000000011270: 92524752
	s_mul_i32 s61, s60, s61                                    // 000000011274: 923D3D3C
	s_add_u32 s82, s82, s61                                    // 000000011278: 80523D52
	v_mul_lo_u32 v6, v5, s82                                   // 00000001127C: D2850006 0000A505
	v_readlane_b32 s82, v3, 1                                  // 000000011284: D2890052 00010303
	s_lshr_b32 s61, s82, 24                                    // 00000001128C: 8F3D9852
	s_and_b32 s82, s82, 0xffffff                               // 000000011290: 8652FF52 00FFFFFF
	s_mul_i32 s82, s82, s71                                    // 000000011298: 92524752
	s_mul_i32 s61, s60, s61                                    // 00000001129C: 923D3D3C
	s_add_u32 s82, s82, s61                                    // 0000000112A0: 80523D52
	v_mul_lo_u32 v7, v4, s82                                   // 0000000112A4: D2850007 0000A504
	v_add_u32_e32 v66, v6, v7                                  // 0000000112AC: 68840F06
	v_readlane_b32 s82, v3, 2                                  // 0000000112B0: D2890052 00010503
	s_lshr_b32 s61, s82, 24                                    // 0000000112B8: 8F3D9852
	s_and_b32 s82, s82, 0xffffff                               // 0000000112BC: 8652FF52 00FFFFFF
	s_mul_i32 s82, s82, s71                                    // 0000000112C4: 92524752
	s_mul_i32 s61, s60, s61                                    // 0000000112C8: 923D3D3C
	s_add_u32 s82, s82, s61                                    // 0000000112CC: 80523D52
	v_mul_lo_u32 v6, v5, s82                                   // 0000000112D0: D2850006 0000A505
	v_readlane_b32 s82, v3, 3                                  // 0000000112D8: D2890052 00010703
	s_lshr_b32 s61, s82, 24                                    // 0000000112E0: 8F3D9852
	s_and_b32 s82, s82, 0xffffff                               // 0000000112E4: 8652FF52 00FFFFFF
	s_mul_i32 s82, s82, s71                                    // 0000000112EC: 92524752
	s_mul_i32 s61, s60, s61                                    // 0000000112F0: 923D3D3C
	s_add_u32 s82, s82, s61                                    // 0000000112F4: 80523D52
	v_mul_lo_u32 v7, v4, s82                                   // 0000000112F8: D2850007 0000A504
	v_add_u32_e32 v67, v6, v7                                  // 000000011300: 68860F06
	v_readlane_b32 s82, v3, 4                                  // 000000011304: D2890052 00010903
	s_lshr_b32 s61, s82, 24                                    // 00000001130C: 8F3D9852
	s_and_b32 s82, s82, 0xffffff                               // 000000011310: 8652FF52 00FFFFFF
	s_mul_i32 s82, s82, s71                                    // 000000011318: 92524752
	s_mul_i32 s61, s60, s61                                    // 00000001131C: 923D3D3C
	s_add_u32 s82, s82, s61                                    // 000000011320: 80523D52
	v_mul_lo_u32 v6, v5, s82                                   // 000000011324: D2850006 0000A505
	v_readlane_b32 s82, v3, 5                                  // 00000001132C: D2890052 00010B03
	s_lshr_b32 s61, s82, 24                                    // 000000011334: 8F3D9852
	s_and_b32 s82, s82, 0xffffff                               // 000000011338: 8652FF52 00FFFFFF
	s_mul_i32 s82, s82, s71                                    // 000000011340: 92524752
	s_mul_i32 s61, s60, s61                                    // 000000011344: 923D3D3C
	s_add_u32 s82, s82, s61                                    // 000000011348: 80523D52
	v_mul_lo_u32 v7, v4, s82                                   // 00000001134C: D2850007 0000A504
	v_add_u32_e32 v68, v6, v7                                  // 000000011354: 68880F06
	v_readlane_b32 s82, v3, 6                                  // 000000011358: D2890052 00010D03
	s_lshr_b32 s61, s82, 24                                    // 000000011360: 8F3D9852
	s_and_b32 s82, s82, 0xffffff                               // 000000011364: 8652FF52 00FFFFFF
	s_mul_i32 s82, s82, s71                                    // 00000001136C: 92524752
	s_mul_i32 s61, s60, s61                                    // 000000011370: 923D3D3C
	s_add_u32 s82, s82, s61                                    // 000000011374: 80523D52
	v_mul_lo_u32 v6, v5, s82                                   // 000000011378: D2850006 0000A505
	v_readlane_b32 s82, v3, 7                                  // 000000011380: D2890052 00010F03
	s_lshr_b32 s61, s82, 24                                    // 000000011388: 8F3D9852
	s_and_b32 s82, s82, 0xffffff                               // 00000001138C: 8652FF52 00FFFFFF
	s_mul_i32 s82, s82, s71                                    // 000000011394: 92524752
	s_mul_i32 s61, s60, s61                                    // 000000011398: 923D3D3C
	s_add_u32 s82, s82, s61                                    // 00000001139C: 80523D52
	v_mul_lo_u32 v7, v4, s82                                   // 0000000113A0: D2850007 0000A504
	v_add_u32_e32 v69, v6, v7                                  // 0000000113A8: 688A0F06
	v_readlane_b32 s82, v3, 8                                  // 0000000113AC: D2890052 00011103
	s_lshr_b32 s61, s82, 24                                    // 0000000113B4: 8F3D9852
	s_and_b32 s82, s82, 0xffffff                               // 0000000113B8: 8652FF52 00FFFFFF
	s_mul_i32 s82, s82, s71                                    // 0000000113C0: 92524752
	s_mul_i32 s61, s60, s61                                    // 0000000113C4: 923D3D3C
	s_add_u32 s82, s82, s61                                    // 0000000113C8: 80523D52
	v_mul_lo_u32 v6, v5, s82                                   // 0000000113CC: D2850006 0000A505
	v_readlane_b32 s82, v3, 9                                  // 0000000113D4: D2890052 00011303
	s_lshr_b32 s61, s82, 24                                    // 0000000113DC: 8F3D9852
	s_and_b32 s82, s82, 0xffffff                               // 0000000113E0: 8652FF52 00FFFFFF
	s_mul_i32 s82, s82, s71                                    // 0000000113E8: 92524752
	s_mul_i32 s61, s60, s61                                    // 0000000113EC: 923D3D3C
	s_add_u32 s82, s82, s61                                    // 0000000113F0: 80523D52
	v_mul_lo_u32 v7, v4, s82                                   // 0000000113F4: D2850007 0000A504
	v_add_u32_e32 v70, v6, v7                                  // 0000000113FC: 688C0F06
	v_readlane_b32 s82, v3, 10                                 // 000000011400: D2890052 00011503
	s_lshr_b32 s61, s82, 24                                    // 000000011408: 8F3D9852
	s_and_b32 s82, s82, 0xffffff                               // 00000001140C: 8652FF52 00FFFFFF
	s_mul_i32 s82, s82, s71                                    // 000000011414: 92524752
	s_mul_i32 s61, s60, s61                                    // 000000011418: 923D3D3C
	s_add_u32 s82, s82, s61                                    // 00000001141C: 80523D52
	v_mul_lo_u32 v6, v5, s82                                   // 000000011420: D2850006 0000A505
	v_readlane_b32 s82, v3, 11                                 // 000000011428: D2890052 00011703
	s_lshr_b32 s61, s82, 24                                    // 000000011430: 8F3D9852
	s_and_b32 s82, s82, 0xffffff                               // 000000011434: 8652FF52 00FFFFFF
	s_mul_i32 s82, s82, s71                                    // 00000001143C: 92524752
	s_mul_i32 s61, s60, s61                                    // 000000011440: 923D3D3C
	s_add_u32 s82, s82, s61                                    // 000000011444: 80523D52
	v_mul_lo_u32 v7, v4, s82                                   // 000000011448: D2850007 0000A504
	v_add_u32_e32 v71, v6, v7                                  // 000000011450: 688E0F06
	v_readlane_b32 s82, v3, 12                                 // 000000011454: D2890052 00011903
	s_lshr_b32 s61, s82, 24                                    // 00000001145C: 8F3D9852
	s_and_b32 s82, s82, 0xffffff                               // 000000011460: 8652FF52 00FFFFFF
	s_mul_i32 s82, s82, s71                                    // 000000011468: 92524752
	s_mul_i32 s61, s60, s61                                    // 00000001146C: 923D3D3C
	s_add_u32 s82, s82, s61                                    // 000000011470: 80523D52
	v_mul_lo_u32 v6, v5, s82                                   // 000000011474: D2850006 0000A505
	v_readlane_b32 s82, v3, 13                                 // 00000001147C: D2890052 00011B03
	s_lshr_b32 s61, s82, 24                                    // 000000011484: 8F3D9852
	s_and_b32 s82, s82, 0xffffff                               // 000000011488: 8652FF52 00FFFFFF
	s_mul_i32 s82, s82, s71                                    // 000000011490: 92524752
	s_mul_i32 s61, s60, s61                                    // 000000011494: 923D3D3C
	s_add_u32 s82, s82, s61                                    // 000000011498: 80523D52
	v_mul_lo_u32 v7, v4, s82                                   // 00000001149C: D2850007 0000A504
	v_add_u32_e32 v72, v6, v7                                  // 0000000114A4: 68900F06
	v_readlane_b32 s82, v3, 14                                 // 0000000114A8: D2890052 00011D03
	s_lshr_b32 s61, s82, 24                                    // 0000000114B0: 8F3D9852
	s_and_b32 s82, s82, 0xffffff                               // 0000000114B4: 8652FF52 00FFFFFF
	s_mul_i32 s82, s82, s71                                    // 0000000114BC: 92524752
	s_mul_i32 s61, s60, s61                                    // 0000000114C0: 923D3D3C
	s_add_u32 s82, s82, s61                                    // 0000000114C4: 80523D52
	v_mul_lo_u32 v6, v5, s82                                   // 0000000114C8: D2850006 0000A505
	v_readlane_b32 s82, v3, 15                                 // 0000000114D0: D2890052 00011F03
	s_lshr_b32 s61, s82, 24                                    // 0000000114D8: 8F3D9852
	s_and_b32 s82, s82, 0xffffff                               // 0000000114DC: 8652FF52 00FFFFFF
	s_mul_i32 s82, s82, s71                                    // 0000000114E4: 92524752
	s_mul_i32 s61, s60, s61                                    // 0000000114E8: 923D3D3C
	s_add_u32 s82, s82, s61                                    // 0000000114EC: 80523D52
	v_mul_lo_u32 v7, v4, s82                                   // 0000000114F0: D2850007 0000A504
	v_add_u32_e32 v73, v6, v7                                  // 0000000114F8: 68920F06
	v_readlane_b32 s82, v3, 16                                 // 0000000114FC: D2890052 00012103
	s_lshr_b32 s61, s82, 24                                    // 000000011504: 8F3D9852
	s_and_b32 s82, s82, 0xffffff                               // 000000011508: 8652FF52 00FFFFFF
	s_mul_i32 s82, s82, s71                                    // 000000011510: 92524752
	s_mul_i32 s61, s60, s61                                    // 000000011514: 923D3D3C
	s_add_u32 s82, s82, s61                                    // 000000011518: 80523D52
	v_mul_lo_u32 v6, v5, s82                                   // 00000001151C: D2850006 0000A505
	v_readlane_b32 s82, v3, 17                                 // 000000011524: D2890052 00012303
	s_lshr_b32 s61, s82, 24                                    // 00000001152C: 8F3D9852
	s_and_b32 s82, s82, 0xffffff                               // 000000011530: 8652FF52 00FFFFFF
	s_mul_i32 s82, s82, s71                                    // 000000011538: 92524752
	s_mul_i32 s61, s60, s61                                    // 00000001153C: 923D3D3C
	s_add_u32 s82, s82, s61                                    // 000000011540: 80523D52
	v_mul_lo_u32 v7, v4, s82                                   // 000000011544: D2850007 0000A504
	v_add_u32_e32 v74, v6, v7                                  // 00000001154C: 68940F06
	v_readlane_b32 s82, v3, 18                                 // 000000011550: D2890052 00012503
	s_lshr_b32 s61, s82, 24                                    // 000000011558: 8F3D9852
	s_and_b32 s82, s82, 0xffffff                               // 00000001155C: 8652FF52 00FFFFFF
	s_mul_i32 s82, s82, s71                                    // 000000011564: 92524752
	s_mul_i32 s61, s60, s61                                    // 000000011568: 923D3D3C
	s_add_u32 s82, s82, s61                                    // 00000001156C: 80523D52
	v_mul_lo_u32 v6, v5, s82                                   // 000000011570: D2850006 0000A505
	v_readlane_b32 s82, v3, 19                                 // 000000011578: D2890052 00012703
	s_lshr_b32 s61, s82, 24                                    // 000000011580: 8F3D9852
	s_and_b32 s82, s82, 0xffffff                               // 000000011584: 8652FF52 00FFFFFF
	s_mul_i32 s82, s82, s71                                    // 00000001158C: 92524752
	s_mul_i32 s61, s60, s61                                    // 000000011590: 923D3D3C
	s_add_u32 s82, s82, s61                                    // 000000011594: 80523D52
	v_mul_lo_u32 v7, v4, s82                                   // 000000011598: D2850007 0000A504
	v_add_u32_e32 v75, v6, v7                                  // 0000000115A0: 68960F06
	v_readlane_b32 s82, v3, 20                                 // 0000000115A4: D2890052 00012903
	s_lshr_b32 s61, s82, 24                                    // 0000000115AC: 8F3D9852
	s_and_b32 s82, s82, 0xffffff                               // 0000000115B0: 8652FF52 00FFFFFF
	s_mul_i32 s82, s82, s71                                    // 0000000115B8: 92524752
	s_mul_i32 s61, s60, s61                                    // 0000000115BC: 923D3D3C
	s_add_u32 s82, s82, s61                                    // 0000000115C0: 80523D52
	v_mul_lo_u32 v6, v5, s82                                   // 0000000115C4: D2850006 0000A505
	v_readlane_b32 s82, v3, 21                                 // 0000000115CC: D2890052 00012B03
	s_lshr_b32 s61, s82, 24                                    // 0000000115D4: 8F3D9852
	s_and_b32 s82, s82, 0xffffff                               // 0000000115D8: 8652FF52 00FFFFFF
	s_mul_i32 s82, s82, s71                                    // 0000000115E0: 92524752
	s_mul_i32 s61, s60, s61                                    // 0000000115E4: 923D3D3C
	s_add_u32 s82, s82, s61                                    // 0000000115E8: 80523D52
	v_mul_lo_u32 v7, v4, s82                                   // 0000000115EC: D2850007 0000A504
	v_add_u32_e32 v76, v6, v7                                  // 0000000115F4: 68980F06
	v_readlane_b32 s82, v3, 22                                 // 0000000115F8: D2890052 00012D03
	s_lshr_b32 s61, s82, 24                                    // 000000011600: 8F3D9852
	s_and_b32 s82, s82, 0xffffff                               // 000000011604: 8652FF52 00FFFFFF
	s_mul_i32 s82, s82, s71                                    // 00000001160C: 92524752
	s_mul_i32 s61, s60, s61                                    // 000000011610: 923D3D3C
	s_add_u32 s82, s82, s61                                    // 000000011614: 80523D52
	v_mul_lo_u32 v6, v5, s82                                   // 000000011618: D2850006 0000A505
	v_readlane_b32 s82, v3, 23                                 // 000000011620: D2890052 00012F03
	s_lshr_b32 s61, s82, 24                                    // 000000011628: 8F3D9852
	s_and_b32 s82, s82, 0xffffff                               // 00000001162C: 8652FF52 00FFFFFF
	s_mul_i32 s82, s82, s71                                    // 000000011634: 92524752
	s_mul_i32 s61, s60, s61                                    // 000000011638: 923D3D3C
	s_add_u32 s82, s82, s61                                    // 00000001163C: 80523D52
	v_mul_lo_u32 v7, v4, s82                                   // 000000011640: D2850007 0000A504
	v_add_u32_e32 v77, v6, v7                                  // 000000011648: 689A0F06
	v_readlane_b32 s82, v3, 24                                 // 00000001164C: D2890052 00013103
	s_lshr_b32 s61, s82, 24                                    // 000000011654: 8F3D9852
	s_and_b32 s82, s82, 0xffffff                               // 000000011658: 8652FF52 00FFFFFF
	s_mul_i32 s82, s82, s71                                    // 000000011660: 92524752
	s_mul_i32 s61, s60, s61                                    // 000000011664: 923D3D3C
	s_add_u32 s82, s82, s61                                    // 000000011668: 80523D52
	v_mul_lo_u32 v6, v5, s82                                   // 00000001166C: D2850006 0000A505
	v_readlane_b32 s82, v3, 25                                 // 000000011674: D2890052 00013303
	s_lshr_b32 s61, s82, 24                                    // 00000001167C: 8F3D9852
	s_and_b32 s82, s82, 0xffffff                               // 000000011680: 8652FF52 00FFFFFF
	s_mul_i32 s82, s82, s71                                    // 000000011688: 92524752
	s_mul_i32 s61, s60, s61                                    // 00000001168C: 923D3D3C
	s_add_u32 s82, s82, s61                                    // 000000011690: 80523D52
	v_mul_lo_u32 v7, v4, s82                                   // 000000011694: D2850007 0000A504
	v_add_u32_e32 v78, v6, v7                                  // 00000001169C: 689C0F06
	v_readlane_b32 s82, v3, 26                                 // 0000000116A0: D2890052 00013503
	s_lshr_b32 s61, s82, 24                                    // 0000000116A8: 8F3D9852
	s_and_b32 s82, s82, 0xffffff                               // 0000000116AC: 8652FF52 00FFFFFF
	s_mul_i32 s82, s82, s71                                    // 0000000116B4: 92524752
	s_mul_i32 s61, s60, s61                                    // 0000000116B8: 923D3D3C
	s_add_u32 s82, s82, s61                                    // 0000000116BC: 80523D52
	v_mul_lo_u32 v6, v5, s82                                   // 0000000116C0: D2850006 0000A505
	v_readlane_b32 s82, v3, 27                                 // 0000000116C8: D2890052 00013703
	s_lshr_b32 s61, s82, 24                                    // 0000000116D0: 8F3D9852
	s_and_b32 s82, s82, 0xffffff                               // 0000000116D4: 8652FF52 00FFFFFF
	s_mul_i32 s82, s82, s71                                    // 0000000116DC: 92524752
	s_mul_i32 s61, s60, s61                                    // 0000000116E0: 923D3D3C
	s_add_u32 s82, s82, s61                                    // 0000000116E4: 80523D52
	v_mul_lo_u32 v7, v4, s82                                   // 0000000116E8: D2850007 0000A504
	v_add_u32_e32 v79, v6, v7                                  // 0000000116F0: 689E0F06
	v_readlane_b32 s82, v3, 28                                 // 0000000116F4: D2890052 00013903
	s_lshr_b32 s61, s82, 24                                    // 0000000116FC: 8F3D9852
	s_and_b32 s82, s82, 0xffffff                               // 000000011700: 8652FF52 00FFFFFF
	s_mul_i32 s82, s82, s71                                    // 000000011708: 92524752
	s_mul_i32 s61, s60, s61                                    // 00000001170C: 923D3D3C
	s_add_u32 s82, s82, s61                                    // 000000011710: 80523D52
	v_mul_lo_u32 v6, v5, s82                                   // 000000011714: D2850006 0000A505
	v_readlane_b32 s82, v3, 29                                 // 00000001171C: D2890052 00013B03
	s_lshr_b32 s61, s82, 24                                    // 000000011724: 8F3D9852
	s_and_b32 s82, s82, 0xffffff                               // 000000011728: 8652FF52 00FFFFFF
	s_mul_i32 s82, s82, s71                                    // 000000011730: 92524752
	s_mul_i32 s61, s60, s61                                    // 000000011734: 923D3D3C
	s_add_u32 s82, s82, s61                                    // 000000011738: 80523D52
	v_mul_lo_u32 v7, v4, s82                                   // 00000001173C: D2850007 0000A504
	v_add_u32_e32 v80, v6, v7                                  // 000000011744: 68A00F06
	v_readlane_b32 s82, v3, 30                                 // 000000011748: D2890052 00013D03
	s_lshr_b32 s61, s82, 24                                    // 000000011750: 8F3D9852
	s_and_b32 s82, s82, 0xffffff                               // 000000011754: 8652FF52 00FFFFFF
	s_mul_i32 s82, s82, s71                                    // 00000001175C: 92524752
	s_mul_i32 s61, s60, s61                                    // 000000011760: 923D3D3C
	s_add_u32 s82, s82, s61                                    // 000000011764: 80523D52
	v_mul_lo_u32 v6, v5, s82                                   // 000000011768: D2850006 0000A505
	v_readlane_b32 s82, v3, 31                                 // 000000011770: D2890052 00013F03
	s_lshr_b32 s61, s82, 24                                    // 000000011778: 8F3D9852
	s_and_b32 s82, s82, 0xffffff                               // 00000001177C: 8652FF52 00FFFFFF
	s_mul_i32 s82, s82, s71                                    // 000000011784: 92524752
	s_mul_i32 s61, s60, s61                                    // 000000011788: 923D3D3C
	s_add_u32 s82, s82, s61                                    // 00000001178C: 80523D52
	v_mul_lo_u32 v7, v4, s82                                   // 000000011790: D2850007 0000A504
	v_add_u32_e32 v81, v6, v7                                  // 000000011798: 68A20F06
	v_readlane_b32 s82, v3, 32                                 // 00000001179C: D2890052 00014103
	s_lshr_b32 s61, s82, 24                                    // 0000000117A4: 8F3D9852
	s_and_b32 s82, s82, 0xffffff                               // 0000000117A8: 8652FF52 00FFFFFF
	s_mul_i32 s82, s82, s71                                    // 0000000117B0: 92524752
	s_mul_i32 s61, s60, s61                                    // 0000000117B4: 923D3D3C
	s_add_u32 s82, s82, s61                                    // 0000000117B8: 80523D52
	v_mul_lo_u32 v6, v5, s82                                   // 0000000117BC: D2850006 0000A505
	v_readlane_b32 s82, v3, 33                                 // 0000000117C4: D2890052 00014303
	s_lshr_b32 s61, s82, 24                                    // 0000000117CC: 8F3D9852
	s_and_b32 s82, s82, 0xffffff                               // 0000000117D0: 8652FF52 00FFFFFF
	s_mul_i32 s82, s82, s71                                    // 0000000117D8: 92524752
	s_mul_i32 s61, s60, s61                                    // 0000000117DC: 923D3D3C
	s_add_u32 s82, s82, s61                                    // 0000000117E0: 80523D52
	v_mul_lo_u32 v7, v4, s82                                   // 0000000117E4: D2850007 0000A504
	v_add_u32_e32 v82, v6, v7                                  // 0000000117EC: 68A40F06
	v_readlane_b32 s82, v3, 34                                 // 0000000117F0: D2890052 00014503
	s_lshr_b32 s61, s82, 24                                    // 0000000117F8: 8F3D9852
	s_and_b32 s82, s82, 0xffffff                               // 0000000117FC: 8652FF52 00FFFFFF
	s_mul_i32 s82, s82, s71                                    // 000000011804: 92524752
	s_mul_i32 s61, s60, s61                                    // 000000011808: 923D3D3C
	s_add_u32 s82, s82, s61                                    // 00000001180C: 80523D52
	v_mul_lo_u32 v6, v5, s82                                   // 000000011810: D2850006 0000A505
	v_readlane_b32 s82, v3, 35                                 // 000000011818: D2890052 00014703
	s_lshr_b32 s61, s82, 24                                    // 000000011820: 8F3D9852
	s_and_b32 s82, s82, 0xffffff                               // 000000011824: 8652FF52 00FFFFFF
	s_mul_i32 s82, s82, s71                                    // 00000001182C: 92524752
	s_mul_i32 s61, s60, s61                                    // 000000011830: 923D3D3C
	s_add_u32 s82, s82, s61                                    // 000000011834: 80523D52
	v_mul_lo_u32 v7, v4, s82                                   // 000000011838: D2850007 0000A504
	v_add_u32_e32 v83, v6, v7                                  // 000000011840: 68A60F06
	v_and_b32_e32 v4, 31, v0                                   // 000000011844: 2608009F
	v_lshrrev_b32_e32 v4, 1, v4                                // 000000011848: 20080881
	s_cmp_eq_u32 s88, 0                                        // 00000001184C: BF068058
	s_cselect_b32 s61, 2, 4                                    // 000000011850: 853D8482
	v_mul_lo_u32 v4, v4, s61                                   // 000000011854: D2850004 00007B04
	v_and_b32_e64 v5, v0, 1                                    // 00000001185C: D1130005 00010300
	v_add_u32_e32 v4, v4, v5                                   // 000000011864: 68080B04
	v_lshlrev_b32_e32 v4, 2, v4                                // 000000011868: 24080882
	v_add_u32_e32 v66, v66, v4                                 // 00000001186C: 68840942
	v_add_u32_e32 v67, v67, v4                                 // 000000011870: 68860943
	v_add_u32_e32 v68, v68, v4                                 // 000000011874: 68880944
	v_add_u32_e32 v69, v69, v4                                 // 000000011878: 688A0945
	v_add_u32_e32 v70, v70, v4                                 // 00000001187C: 688C0946
	v_add_u32_e32 v71, v71, v4                                 // 000000011880: 688E0947
	v_add_u32_e32 v72, v72, v4                                 // 000000011884: 68900948
	v_add_u32_e32 v73, v73, v4                                 // 000000011888: 68920949
	v_add_u32_e32 v74, v74, v4                                 // 00000001188C: 6894094A
	v_add_u32_e32 v75, v75, v4                                 // 000000011890: 6896094B
	v_add_u32_e32 v76, v76, v4                                 // 000000011894: 6898094C
	v_add_u32_e32 v77, v77, v4                                 // 000000011898: 689A094D
	v_add_u32_e32 v78, v78, v4                                 // 00000001189C: 689C094E
	v_add_u32_e32 v79, v79, v4                                 // 0000000118A0: 689E094F
	v_add_u32_e32 v80, v80, v4                                 // 0000000118A4: 68A00950
	v_add_u32_e32 v81, v81, v4                                 // 0000000118A8: 68A20951
	v_add_u32_e32 v82, v82, v4                                 // 0000000118AC: 68A40952
	v_add_u32_e32 v83, v83, v4                                 // 0000000118B0: 68A60953
	s_waitcnt lgkmcnt(0)                                       // 0000000118B4: BF8CC07F
	s_barrier                                                  // 0000000118B8: BF8A0000
	ds_read_b32 v88, v21                                       // 0000000118BC: D86C0000 58000015
	ds_read_b32 v89, v21 offset:64                             // 0000000118C4: D86C0040 59000015
	ds_read_b32 v92, v21 offset:2176                           // 0000000118CC: D86C0880 5C000015
	ds_read_b32 v93, v21 offset:2240                           // 0000000118D4: D86C08C0 5D000015
	ds_read_b32 v96, v21 offset:4352                           // 0000000118DC: D86C1100 60000015
	ds_read_b32 v97, v21 offset:4416                           // 0000000118E4: D86C1140 61000015
	ds_read_b32 v100, v21 offset:6528                          // 0000000118EC: D86C1980 64000015
	ds_read_b32 v101, v21 offset:6592                          // 0000000118F4: D86C19C0 65000015
	ds_read_b32 v104, v21 offset:8704                          // 0000000118FC: D86C2200 68000015
	ds_read_b32 v105, v21 offset:8768                          // 000000011904: D86C2240 69000015
	ds_read_b32 v108, v21 offset:10880                         // 00000001190C: D86C2A80 6C000015
	ds_read_b32 v109, v21 offset:10944                         // 000000011914: D86C2AC0 6D000015
	ds_read_b32 v112, v21 offset:13056                         // 00000001191C: D86C3300 70000015
	ds_read_b32 v113, v21 offset:13120                         // 000000011924: D86C3340 71000015
	ds_read_b32 v116, v21 offset:15232                         // 00000001192C: D86C3B80 74000015
	ds_read_b32 v117, v21 offset:15296                         // 000000011934: D86C3BC0 75000015
	ds_read_b32 v120, v21 offset:17408                         // 00000001193C: D86C4400 78000015
	ds_read_b32 v121, v21 offset:17472                         // 000000011944: D86C4440 79000015
	ds_read_b32 v124, v21 offset:19584                         // 00000001194C: D86C4C80 7C000015
	ds_read_b32 v125, v21 offset:19648                         // 000000011954: D86C4CC0 7D000015
	ds_read_b32 v128, v21 offset:21760                         // 00000001195C: D86C5500 80000015
	ds_read_b32 v129, v21 offset:21824                         // 000000011964: D86C5540 81000015
	ds_read_b32 v132, v21 offset:23936                         // 00000001196C: D86C5D80 84000015
	ds_read_b32 v133, v21 offset:24000                         // 000000011974: D86C5DC0 85000015
	ds_read_b32 v136, v21 offset:26112                         // 00000001197C: D86C6600 88000015
	ds_read_b32 v137, v21 offset:26176                         // 000000011984: D86C6640 89000015
	ds_read_b32 v140, v21 offset:28288                         // 00000001198C: D86C6E80 8C000015
	ds_read_b32 v141, v21 offset:28352                         // 000000011994: D86C6EC0 8D000015
	ds_read_b32 v144, v21 offset:30464                         // 00000001199C: D86C7700 90000015
	ds_read_b32 v145, v21 offset:30528                         // 0000000119A4: D86C7740 91000015
	ds_read_b32 v148, v21 offset:32640                         // 0000000119AC: D86C7F80 94000015
	ds_read_b32 v149, v21 offset:32704                         // 0000000119B4: D86C7FC0 95000015
	ds_read_b32 v152, v21 offset:34816                         // 0000000119BC: D86C8800 98000015
	ds_read_b32 v153, v21 offset:34880                         // 0000000119C4: D86C8840 99000015
	ds_read_b32 v156, v21 offset:36992                         // 0000000119CC: D86C9080 9C000015
	ds_read_b32 v157, v21 offset:37056                         // 0000000119D4: D86C90C0 9D000015
	s_waitcnt lgkmcnt(0)                                       // 0000000119DC: BF8CC07F
	s_mov_b32 s36, -1                                          // 0000000119E0: BEA400C1
	s_mov_b32 s37, -1                                          // 0000000119E4: BEA500C1
	v_mov_b32_e32 v7, 0                                        // 0000000119E8: 7E0E0280
	s_mov_b64 exec, s[36:37]                                   // 0000000119EC: BEFE0124
	v_mov_b32_e32 v6, v66                                      // 0000000119F0: 7E0C0342
	s_mov_b64 s[60:61], 0                                      // 0000000119F4: BEBC0180
	v_readlane_b32 s82, v3, 0                                  // 0000000119F8: D2890052 00010103
	s_and_b32 s82, s82, 0xffffff                               // 000000011A00: 8652FF52 00FFFFFF
	s_cmp_lt_u32 s82, s66                                      // 000000011A08: BF0A4252
	s_cselect_b32 s20, s36, s60                                // 000000011A0C: 85143C24
	v_readlane_b32 s82, v3, 1                                  // 000000011A10: D2890052 00010303
	s_and_b32 s82, s82, 0xffffff                               // 000000011A18: 8652FF52 00FFFFFF
	s_cmp_lt_u32 s82, s66                                      // 000000011A20: BF0A4252
	s_cselect_b32 s21, s36, s60                                // 000000011A24: 85153C24
	s_mov_b64 exec, s[20:21]                                   // 000000011A28: BEFE0114
	global_atomic_add_f32 v6, v88, s[8:9]                      // 000000011A2C: DD348000 00085806
	global_atomic_add_f32 v6, v92, s[8:9] offset:256           // 000000011A34: DD348100 00085C06
	s_mov_b64 exec, s[36:37]                                   // 000000011A3C: BEFE0124
	v_mov_b32_e32 v6, v67                                      // 000000011A40: 7E0C0343
	s_mov_b64 s[60:61], 0                                      // 000000011A44: BEBC0180
	v_readlane_b32 s82, v3, 2                                  // 000000011A48: D2890052 00010503
	s_and_b32 s82, s82, 0xffffff                               // 000000011A50: 8652FF52 00FFFFFF
	s_cmp_lt_u32 s82, s66                                      // 000000011A58: BF0A4252
	s_cselect_b32 s20, s36, s60                                // 000000011A5C: 85143C24
	v_readlane_b32 s82, v3, 3                                  // 000000011A60: D2890052 00010703
	s_and_b32 s82, s82, 0xffffff                               // 000000011A68: 8652FF52 00FFFFFF
	s_cmp_lt_u32 s82, s66                                      // 000000011A70: BF0A4252
	s_cselect_b32 s21, s36, s60                                // 000000011A74: 85153C24
	s_mov_b64 exec, s[20:21]                                   // 000000011A78: BEFE0114
	global_atomic_add_f32 v6, v89, s[8:9]                      // 000000011A7C: DD348000 00085906
	global_atomic_add_f32 v6, v93, s[8:9] offset:256           // 000000011A84: DD348100 00085D06
	s_mov_b64 exec, s[36:37]                                   // 000000011A8C: BEFE0124
	v_mov_b32_e32 v6, v68                                      // 000000011A90: 7E0C0344
	s_mov_b64 s[60:61], 0                                      // 000000011A94: BEBC0180
	v_readlane_b32 s82, v3, 4                                  // 000000011A98: D2890052 00010903
	s_and_b32 s82, s82, 0xffffff                               // 000000011AA0: 8652FF52 00FFFFFF
	s_cmp_lt_u32 s82, s66                                      // 000000011AA8: BF0A4252
	s_cselect_b32 s20, s36, s60                                // 000000011AAC: 85143C24
	v_readlane_b32 s82, v3, 5                                  // 000000011AB0: D2890052 00010B03
	s_and_b32 s82, s82, 0xffffff                               // 000000011AB8: 8652FF52 00FFFFFF
	s_cmp_lt_u32 s82, s66                                      // 000000011AC0: BF0A4252
	s_cselect_b32 s21, s36, s60                                // 000000011AC4: 85153C24
	s_mov_b64 exec, s[20:21]                                   // 000000011AC8: BEFE0114
	global_atomic_add_f32 v6, v96, s[8:9]                      // 000000011ACC: DD348000 00086006
	global_atomic_add_f32 v6, v100, s[8:9] offset:256          // 000000011AD4: DD348100 00086406
	s_mov_b64 exec, s[36:37]                                   // 000000011ADC: BEFE0124
	v_mov_b32_e32 v6, v69                                      // 000000011AE0: 7E0C0345
	s_mov_b64 s[60:61], 0                                      // 000000011AE4: BEBC0180
	v_readlane_b32 s82, v3, 6                                  // 000000011AE8: D2890052 00010D03
	s_and_b32 s82, s82, 0xffffff                               // 000000011AF0: 8652FF52 00FFFFFF
	s_cmp_lt_u32 s82, s66                                      // 000000011AF8: BF0A4252
	s_cselect_b32 s20, s36, s60                                // 000000011AFC: 85143C24
	v_readlane_b32 s82, v3, 7                                  // 000000011B00: D2890052 00010F03
	s_and_b32 s82, s82, 0xffffff                               // 000000011B08: 8652FF52 00FFFFFF
	s_cmp_lt_u32 s82, s66                                      // 000000011B10: BF0A4252
	s_cselect_b32 s21, s36, s60                                // 000000011B14: 85153C24
	s_mov_b64 exec, s[20:21]                                   // 000000011B18: BEFE0114
	global_atomic_add_f32 v6, v97, s[8:9]                      // 000000011B1C: DD348000 00086106
	global_atomic_add_f32 v6, v101, s[8:9] offset:256          // 000000011B24: DD348100 00086506
	s_mov_b64 exec, s[36:37]                                   // 000000011B2C: BEFE0124
	v_mov_b32_e32 v6, v70                                      // 000000011B30: 7E0C0346
	s_mov_b64 s[60:61], 0                                      // 000000011B34: BEBC0180
	v_readlane_b32 s82, v3, 8                                  // 000000011B38: D2890052 00011103
	s_and_b32 s82, s82, 0xffffff                               // 000000011B40: 8652FF52 00FFFFFF
	s_cmp_lt_u32 s82, s66                                      // 000000011B48: BF0A4252
	s_cselect_b32 s20, s36, s60                                // 000000011B4C: 85143C24
	v_readlane_b32 s82, v3, 9                                  // 000000011B50: D2890052 00011303
	s_and_b32 s82, s82, 0xffffff                               // 000000011B58: 8652FF52 00FFFFFF
	s_cmp_lt_u32 s82, s66                                      // 000000011B60: BF0A4252
	s_cselect_b32 s21, s36, s60                                // 000000011B64: 85153C24
	s_mov_b64 exec, s[20:21]                                   // 000000011B68: BEFE0114
	global_atomic_add_f32 v6, v104, s[8:9]                     // 000000011B6C: DD348000 00086806
	global_atomic_add_f32 v6, v108, s[8:9] offset:256          // 000000011B74: DD348100 00086C06
	s_mov_b64 exec, s[36:37]                                   // 000000011B7C: BEFE0124
	v_mov_b32_e32 v6, v71                                      // 000000011B80: 7E0C0347
	s_mov_b64 s[60:61], 0                                      // 000000011B84: BEBC0180
	v_readlane_b32 s82, v3, 10                                 // 000000011B88: D2890052 00011503
	s_and_b32 s82, s82, 0xffffff                               // 000000011B90: 8652FF52 00FFFFFF
	s_cmp_lt_u32 s82, s66                                      // 000000011B98: BF0A4252
	s_cselect_b32 s20, s36, s60                                // 000000011B9C: 85143C24
	v_readlane_b32 s82, v3, 11                                 // 000000011BA0: D2890052 00011703
	s_and_b32 s82, s82, 0xffffff                               // 000000011BA8: 8652FF52 00FFFFFF
	s_cmp_lt_u32 s82, s66                                      // 000000011BB0: BF0A4252
	s_cselect_b32 s21, s36, s60                                // 000000011BB4: 85153C24
	s_mov_b64 exec, s[20:21]                                   // 000000011BB8: BEFE0114
	global_atomic_add_f32 v6, v105, s[8:9]                     // 000000011BBC: DD348000 00086906
	global_atomic_add_f32 v6, v109, s[8:9] offset:256          // 000000011BC4: DD348100 00086D06
	s_mov_b64 exec, s[36:37]                                   // 000000011BCC: BEFE0124
	v_mov_b32_e32 v6, v72                                      // 000000011BD0: 7E0C0348
	s_mov_b64 s[60:61], 0                                      // 000000011BD4: BEBC0180
	v_readlane_b32 s82, v3, 12                                 // 000000011BD8: D2890052 00011903
	s_and_b32 s82, s82, 0xffffff                               // 000000011BE0: 8652FF52 00FFFFFF
	s_cmp_lt_u32 s82, s66                                      // 000000011BE8: BF0A4252
	s_cselect_b32 s20, s36, s60                                // 000000011BEC: 85143C24
	v_readlane_b32 s82, v3, 13                                 // 000000011BF0: D2890052 00011B03
	s_and_b32 s82, s82, 0xffffff                               // 000000011BF8: 8652FF52 00FFFFFF
	s_cmp_lt_u32 s82, s66                                      // 000000011C00: BF0A4252
	s_cselect_b32 s21, s36, s60                                // 000000011C04: 85153C24
	s_mov_b64 exec, s[20:21]                                   // 000000011C08: BEFE0114
	global_atomic_add_f32 v6, v112, s[8:9]                     // 000000011C0C: DD348000 00087006
	global_atomic_add_f32 v6, v116, s[8:9] offset:256          // 000000011C14: DD348100 00087406
	s_mov_b64 exec, s[36:37]                                   // 000000011C1C: BEFE0124
	v_mov_b32_e32 v6, v73                                      // 000000011C20: 7E0C0349
	s_mov_b64 s[60:61], 0                                      // 000000011C24: BEBC0180
	v_readlane_b32 s82, v3, 14                                 // 000000011C28: D2890052 00011D03
	s_and_b32 s82, s82, 0xffffff                               // 000000011C30: 8652FF52 00FFFFFF
	s_cmp_lt_u32 s82, s66                                      // 000000011C38: BF0A4252
	s_cselect_b32 s20, s36, s60                                // 000000011C3C: 85143C24
	v_readlane_b32 s82, v3, 15                                 // 000000011C40: D2890052 00011F03
	s_and_b32 s82, s82, 0xffffff                               // 000000011C48: 8652FF52 00FFFFFF
	s_cmp_lt_u32 s82, s66                                      // 000000011C50: BF0A4252
	s_cselect_b32 s21, s36, s60                                // 000000011C54: 85153C24
	s_mov_b64 exec, s[20:21]                                   // 000000011C58: BEFE0114
	global_atomic_add_f32 v6, v113, s[8:9]                     // 000000011C5C: DD348000 00087106
	global_atomic_add_f32 v6, v117, s[8:9] offset:256          // 000000011C64: DD348100 00087506
	s_mov_b64 exec, s[36:37]                                   // 000000011C6C: BEFE0124
	v_mov_b32_e32 v6, v74                                      // 000000011C70: 7E0C034A
	s_mov_b64 s[60:61], 0                                      // 000000011C74: BEBC0180
	v_readlane_b32 s82, v3, 16                                 // 000000011C78: D2890052 00012103
	s_and_b32 s82, s82, 0xffffff                               // 000000011C80: 8652FF52 00FFFFFF
	s_cmp_lt_u32 s82, s66                                      // 000000011C88: BF0A4252
	s_cselect_b32 s20, s36, s60                                // 000000011C8C: 85143C24
	v_readlane_b32 s82, v3, 17                                 // 000000011C90: D2890052 00012303
	s_and_b32 s82, s82, 0xffffff                               // 000000011C98: 8652FF52 00FFFFFF
	s_cmp_lt_u32 s82, s66                                      // 000000011CA0: BF0A4252
	s_cselect_b32 s21, s36, s60                                // 000000011CA4: 85153C24
	s_mov_b64 exec, s[20:21]                                   // 000000011CA8: BEFE0114
	global_atomic_add_f32 v6, v120, s[8:9]                     // 000000011CAC: DD348000 00087806
	global_atomic_add_f32 v6, v124, s[8:9] offset:256          // 000000011CB4: DD348100 00087C06
	s_mov_b64 exec, s[36:37]                                   // 000000011CBC: BEFE0124
	v_mov_b32_e32 v6, v75                                      // 000000011CC0: 7E0C034B
	s_mov_b64 s[60:61], 0                                      // 000000011CC4: BEBC0180
	v_readlane_b32 s82, v3, 18                                 // 000000011CC8: D2890052 00012503
	s_and_b32 s82, s82, 0xffffff                               // 000000011CD0: 8652FF52 00FFFFFF
	s_cmp_lt_u32 s82, s66                                      // 000000011CD8: BF0A4252
	s_cselect_b32 s20, s36, s60                                // 000000011CDC: 85143C24
	v_readlane_b32 s82, v3, 19                                 // 000000011CE0: D2890052 00012703
	s_and_b32 s82, s82, 0xffffff                               // 000000011CE8: 8652FF52 00FFFFFF
	s_cmp_lt_u32 s82, s66                                      // 000000011CF0: BF0A4252
	s_cselect_b32 s21, s36, s60                                // 000000011CF4: 85153C24
	s_mov_b64 exec, s[20:21]                                   // 000000011CF8: BEFE0114
	global_atomic_add_f32 v6, v121, s[8:9]                     // 000000011CFC: DD348000 00087906
	global_atomic_add_f32 v6, v125, s[8:9] offset:256          // 000000011D04: DD348100 00087D06
	s_mov_b64 exec, s[36:37]                                   // 000000011D0C: BEFE0124
	v_mov_b32_e32 v6, v76                                      // 000000011D10: 7E0C034C
	s_mov_b64 s[60:61], 0                                      // 000000011D14: BEBC0180
	v_readlane_b32 s82, v3, 20                                 // 000000011D18: D2890052 00012903
	s_and_b32 s82, s82, 0xffffff                               // 000000011D20: 8652FF52 00FFFFFF
	s_cmp_lt_u32 s82, s66                                      // 000000011D28: BF0A4252
	s_cselect_b32 s20, s36, s60                                // 000000011D2C: 85143C24
	v_readlane_b32 s82, v3, 21                                 // 000000011D30: D2890052 00012B03
	s_and_b32 s82, s82, 0xffffff                               // 000000011D38: 8652FF52 00FFFFFF
	s_cmp_lt_u32 s82, s66                                      // 000000011D40: BF0A4252
	s_cselect_b32 s21, s36, s60                                // 000000011D44: 85153C24
	s_mov_b64 exec, s[20:21]                                   // 000000011D48: BEFE0114
	global_atomic_add_f32 v6, v128, s[8:9]                     // 000000011D4C: DD348000 00088006
	global_atomic_add_f32 v6, v132, s[8:9] offset:256          // 000000011D54: DD348100 00088406
	s_mov_b64 exec, s[36:37]                                   // 000000011D5C: BEFE0124
	v_mov_b32_e32 v6, v77                                      // 000000011D60: 7E0C034D
	s_mov_b64 s[60:61], 0                                      // 000000011D64: BEBC0180
	v_readlane_b32 s82, v3, 22                                 // 000000011D68: D2890052 00012D03
	s_and_b32 s82, s82, 0xffffff                               // 000000011D70: 8652FF52 00FFFFFF
	s_cmp_lt_u32 s82, s66                                      // 000000011D78: BF0A4252
	s_cselect_b32 s20, s36, s60                                // 000000011D7C: 85143C24
	v_readlane_b32 s82, v3, 23                                 // 000000011D80: D2890052 00012F03
	s_and_b32 s82, s82, 0xffffff                               // 000000011D88: 8652FF52 00FFFFFF
	s_cmp_lt_u32 s82, s66                                      // 000000011D90: BF0A4252
	s_cselect_b32 s21, s36, s60                                // 000000011D94: 85153C24
	s_mov_b64 exec, s[20:21]                                   // 000000011D98: BEFE0114
	global_atomic_add_f32 v6, v129, s[8:9]                     // 000000011D9C: DD348000 00088106
	global_atomic_add_f32 v6, v133, s[8:9] offset:256          // 000000011DA4: DD348100 00088506
	s_mov_b64 exec, s[36:37]                                   // 000000011DAC: BEFE0124
	v_mov_b32_e32 v6, v78                                      // 000000011DB0: 7E0C034E
	s_mov_b64 s[60:61], 0                                      // 000000011DB4: BEBC0180
	v_readlane_b32 s82, v3, 24                                 // 000000011DB8: D2890052 00013103
	s_and_b32 s82, s82, 0xffffff                               // 000000011DC0: 8652FF52 00FFFFFF
	s_cmp_lt_u32 s82, s66                                      // 000000011DC8: BF0A4252
	s_cselect_b32 s20, s36, s60                                // 000000011DCC: 85143C24
	v_readlane_b32 s82, v3, 25                                 // 000000011DD0: D2890052 00013303
	s_and_b32 s82, s82, 0xffffff                               // 000000011DD8: 8652FF52 00FFFFFF
	s_cmp_lt_u32 s82, s66                                      // 000000011DE0: BF0A4252
	s_cselect_b32 s21, s36, s60                                // 000000011DE4: 85153C24
	s_mov_b64 exec, s[20:21]                                   // 000000011DE8: BEFE0114
	global_atomic_add_f32 v6, v136, s[8:9]                     // 000000011DEC: DD348000 00088806
	global_atomic_add_f32 v6, v140, s[8:9] offset:256          // 000000011DF4: DD348100 00088C06
	s_mov_b64 exec, s[36:37]                                   // 000000011DFC: BEFE0124
	v_mov_b32_e32 v6, v79                                      // 000000011E00: 7E0C034F
	s_mov_b64 s[60:61], 0                                      // 000000011E04: BEBC0180
	v_readlane_b32 s82, v3, 26                                 // 000000011E08: D2890052 00013503
	s_and_b32 s82, s82, 0xffffff                               // 000000011E10: 8652FF52 00FFFFFF
	s_cmp_lt_u32 s82, s66                                      // 000000011E18: BF0A4252
	s_cselect_b32 s20, s36, s60                                // 000000011E1C: 85143C24
	v_readlane_b32 s82, v3, 27                                 // 000000011E20: D2890052 00013703
	s_and_b32 s82, s82, 0xffffff                               // 000000011E28: 8652FF52 00FFFFFF
	s_cmp_lt_u32 s82, s66                                      // 000000011E30: BF0A4252
	s_cselect_b32 s21, s36, s60                                // 000000011E34: 85153C24
	s_mov_b64 exec, s[20:21]                                   // 000000011E38: BEFE0114
	global_atomic_add_f32 v6, v137, s[8:9]                     // 000000011E3C: DD348000 00088906
	global_atomic_add_f32 v6, v141, s[8:9] offset:256          // 000000011E44: DD348100 00088D06
	s_mov_b64 exec, s[36:37]                                   // 000000011E4C: BEFE0124
	v_mov_b32_e32 v6, v80                                      // 000000011E50: 7E0C0350
	s_mov_b64 s[60:61], 0                                      // 000000011E54: BEBC0180
	v_readlane_b32 s82, v3, 28                                 // 000000011E58: D2890052 00013903
	s_and_b32 s82, s82, 0xffffff                               // 000000011E60: 8652FF52 00FFFFFF
	s_cmp_lt_u32 s82, s66                                      // 000000011E68: BF0A4252
	s_cselect_b32 s20, s36, s60                                // 000000011E6C: 85143C24
	v_readlane_b32 s82, v3, 29                                 // 000000011E70: D2890052 00013B03
	s_and_b32 s82, s82, 0xffffff                               // 000000011E78: 8652FF52 00FFFFFF
	s_cmp_lt_u32 s82, s66                                      // 000000011E80: BF0A4252
	s_cselect_b32 s21, s36, s60                                // 000000011E84: 85153C24
	s_mov_b64 exec, s[20:21]                                   // 000000011E88: BEFE0114
	global_atomic_add_f32 v6, v144, s[8:9]                     // 000000011E8C: DD348000 00089006
	global_atomic_add_f32 v6, v148, s[8:9] offset:256          // 000000011E94: DD348100 00089406
	s_mov_b64 exec, s[36:37]                                   // 000000011E9C: BEFE0124
	v_mov_b32_e32 v6, v81                                      // 000000011EA0: 7E0C0351
	s_mov_b64 s[60:61], 0                                      // 000000011EA4: BEBC0180
	v_readlane_b32 s82, v3, 30                                 // 000000011EA8: D2890052 00013D03
	s_and_b32 s82, s82, 0xffffff                               // 000000011EB0: 8652FF52 00FFFFFF
	s_cmp_lt_u32 s82, s66                                      // 000000011EB8: BF0A4252
	s_cselect_b32 s20, s36, s60                                // 000000011EBC: 85143C24
	v_readlane_b32 s82, v3, 31                                 // 000000011EC0: D2890052 00013F03
	s_and_b32 s82, s82, 0xffffff                               // 000000011EC8: 8652FF52 00FFFFFF
	s_cmp_lt_u32 s82, s66                                      // 000000011ED0: BF0A4252
	s_cselect_b32 s21, s36, s60                                // 000000011ED4: 85153C24
	s_mov_b64 exec, s[20:21]                                   // 000000011ED8: BEFE0114
	global_atomic_add_f32 v6, v145, s[8:9]                     // 000000011EDC: DD348000 00089106
	global_atomic_add_f32 v6, v149, s[8:9] offset:256          // 000000011EE4: DD348100 00089506
	s_mov_b64 exec, s[36:37]                                   // 000000011EEC: BEFE0124
	v_mov_b32_e32 v6, v82                                      // 000000011EF0: 7E0C0352
	s_mov_b64 s[60:61], 0                                      // 000000011EF4: BEBC0180
	v_readlane_b32 s82, v3, 32                                 // 000000011EF8: D2890052 00014103
	s_and_b32 s82, s82, 0xffffff                               // 000000011F00: 8652FF52 00FFFFFF
	s_cmp_lt_u32 s82, s66                                      // 000000011F08: BF0A4252
	s_cselect_b32 s20, s36, s60                                // 000000011F0C: 85143C24
	v_readlane_b32 s82, v3, 33                                 // 000000011F10: D2890052 00014303
	s_and_b32 s82, s82, 0xffffff                               // 000000011F18: 8652FF52 00FFFFFF
	s_cmp_lt_u32 s82, s66                                      // 000000011F20: BF0A4252
	s_cselect_b32 s21, s36, s60                                // 000000011F24: 85153C24
	s_mov_b64 exec, s[20:21]                                   // 000000011F28: BEFE0114
	global_atomic_add_f32 v6, v152, s[8:9]                     // 000000011F2C: DD348000 00089806
	global_atomic_add_f32 v6, v156, s[8:9] offset:256          // 000000011F34: DD348100 00089C06
	s_mov_b64 exec, s[36:37]                                   // 000000011F3C: BEFE0124
	v_mov_b32_e32 v6, v83                                      // 000000011F40: 7E0C0353
	s_mov_b64 s[60:61], 0                                      // 000000011F44: BEBC0180
	v_readlane_b32 s82, v3, 34                                 // 000000011F48: D2890052 00014503
	s_and_b32 s82, s82, 0xffffff                               // 000000011F50: 8652FF52 00FFFFFF
	s_cmp_lt_u32 s82, s66                                      // 000000011F58: BF0A4252
	s_cselect_b32 s20, s36, s60                                // 000000011F5C: 85143C24
	v_readlane_b32 s82, v3, 35                                 // 000000011F60: D2890052 00014703
	s_and_b32 s82, s82, 0xffffff                               // 000000011F68: 8652FF52 00FFFFFF
	s_cmp_lt_u32 s82, s66                                      // 000000011F70: BF0A4252
	s_cselect_b32 s21, s36, s60                                // 000000011F74: 85153C24
	s_mov_b64 exec, s[20:21]                                   // 000000011F78: BEFE0114
	global_atomic_add_f32 v6, v153, s[8:9]                     // 000000011F7C: DD348000 00089906
	global_atomic_add_f32 v6, v157, s[8:9] offset:256          // 000000011F84: DD348100 00089D06
	s_mov_b64 exec, s[36:37]                                   // 000000011F8C: BEFE0124
	ds_write_b64 v20, v[90:91]                                 // 000000011F90: D89A0000 00005A14
	ds_write_b64 v20, v[94:95] offset:4352                     // 000000011F98: D89A1100 00005E14
	ds_write_b64 v20, v[98:99] offset:8704                     // 000000011FA0: D89A2200 00006214
	ds_write_b64 v20, v[102:103] offset:13056                  // 000000011FA8: D89A3300 00006614
	ds_write_b64 v20, v[106:107] offset:17408                  // 000000011FB0: D89A4400 00006A14
	ds_write_b64 v20, v[110:111] offset:21760                  // 000000011FB8: D89A5500 00006E14
	ds_write_b64 v20, v[114:115] offset:26112                  // 000000011FC0: D89A6600 00007214
	ds_write_b64 v20, v[118:119] offset:30464                  // 000000011FC8: D89A7700 00007614
	ds_write_b64 v20, v[122:123] offset:34816                  // 000000011FD0: D89A8800 00007A14
	ds_write_b64 v20, v[126:127] offset:2176                   // 000000011FD8: D89A0880 00007E14
	ds_write_b64 v20, v[130:131] offset:6528                   // 000000011FE0: D89A1980 00008214
	ds_write_b64 v20, v[134:135] offset:10880                  // 000000011FE8: D89A2A80 00008614
	ds_write_b64 v20, v[138:139] offset:15232                  // 000000011FF0: D89A3B80 00008A14
	ds_write_b64 v20, v[142:143] offset:19584                  // 000000011FF8: D89A4C80 00008E14
	ds_write_b64 v20, v[146:147] offset:23936                  // 000000012000: D89A5D80 00009214
	ds_write_b64 v20, v[150:151] offset:28288                  // 000000012008: D89A6E80 00009614
	ds_write_b64 v20, v[154:155] offset:32640                  // 000000012010: D89A7F80 00009A14
	ds_write_b64 v20, v[158:159] offset:36992                  // 000000012018: D89A9080 00009E14
	s_waitcnt lgkmcnt(0)                                       // 000000012020: BF8CC07F
	s_barrier                                                  // 000000012024: BF8A0000
	ds_read_b32 v90, v21                                       // 000000012028: D86C0000 5A000015
	ds_read_b32 v91, v21 offset:64                             // 000000012030: D86C0040 5B000015
	ds_read_b32 v94, v21 offset:2176                           // 000000012038: D86C0880 5E000015
	ds_read_b32 v95, v21 offset:2240                           // 000000012040: D86C08C0 5F000015
	ds_read_b32 v98, v21 offset:4352                           // 000000012048: D86C1100 62000015
	ds_read_b32 v99, v21 offset:4416                           // 000000012050: D86C1140 63000015
	ds_read_b32 v102, v21 offset:6528                          // 000000012058: D86C1980 66000015
	ds_read_b32 v103, v21 offset:6592                          // 000000012060: D86C19C0 67000015
	ds_read_b32 v106, v21 offset:8704                          // 000000012068: D86C2200 6A000015
	ds_read_b32 v107, v21 offset:8768                          // 000000012070: D86C2240 6B000015
	ds_read_b32 v110, v21 offset:10880                         // 000000012078: D86C2A80 6E000015
	ds_read_b32 v111, v21 offset:10944                         // 000000012080: D86C2AC0 6F000015
	ds_read_b32 v114, v21 offset:13056                         // 000000012088: D86C3300 72000015
	ds_read_b32 v115, v21 offset:13120                         // 000000012090: D86C3340 73000015
	ds_read_b32 v118, v21 offset:15232                         // 000000012098: D86C3B80 76000015
	ds_read_b32 v119, v21 offset:15296                         // 0000000120A0: D86C3BC0 77000015
	ds_read_b32 v122, v21 offset:17408                         // 0000000120A8: D86C4400 7A000015
	ds_read_b32 v123, v21 offset:17472                         // 0000000120B0: D86C4440 7B000015
	ds_read_b32 v126, v21 offset:19584                         // 0000000120B8: D86C4C80 7E000015
	ds_read_b32 v127, v21 offset:19648                         // 0000000120C0: D86C4CC0 7F000015
	ds_read_b32 v130, v21 offset:21760                         // 0000000120C8: D86C5500 82000015
	ds_read_b32 v131, v21 offset:21824                         // 0000000120D0: D86C5540 83000015
	ds_read_b32 v134, v21 offset:23936                         // 0000000120D8: D86C5D80 86000015
	ds_read_b32 v135, v21 offset:24000                         // 0000000120E0: D86C5DC0 87000015
	ds_read_b32 v138, v21 offset:26112                         // 0000000120E8: D86C6600 8A000015
	ds_read_b32 v139, v21 offset:26176                         // 0000000120F0: D86C6640 8B000015
	ds_read_b32 v142, v21 offset:28288                         // 0000000120F8: D86C6E80 8E000015
	ds_read_b32 v143, v21 offset:28352                         // 000000012100: D86C6EC0 8F000015
	ds_read_b32 v146, v21 offset:30464                         // 000000012108: D86C7700 92000015
	ds_read_b32 v147, v21 offset:30528                         // 000000012110: D86C7740 93000015
	ds_read_b32 v150, v21 offset:32640                         // 000000012118: D86C7F80 96000015
	ds_read_b32 v151, v21 offset:32704                         // 000000012120: D86C7FC0 97000015
	ds_read_b32 v154, v21 offset:34816                         // 000000012128: D86C8800 9A000015
	ds_read_b32 v155, v21 offset:34880                         // 000000012130: D86C8840 9B000015
	ds_read_b32 v158, v21 offset:36992                         // 000000012138: D86C9080 9E000015
	ds_read_b32 v159, v21 offset:37056                         // 000000012140: D86C90C0 9F000015
	s_waitcnt lgkmcnt(0)                                       // 000000012148: BF8CC07F
	v_mov_b32_e32 v7, 0                                        // 00000001214C: 7E0E0280
	s_mov_b64 exec, s[36:37]                                   // 000000012150: BEFE0124
	v_mov_b32_e32 v6, v66                                      // 000000012154: 7E0C0342
	s_mov_b64 s[60:61], 0                                      // 000000012158: BEBC0180
	v_readlane_b32 s82, v3, 0                                  // 00000001215C: D2890052 00010103
	s_and_b32 s82, s82, 0xffffff                               // 000000012164: 8652FF52 00FFFFFF
	s_cmp_lt_u32 s82, s66                                      // 00000001216C: BF0A4252
	s_cselect_b32 s20, s36, s60                                // 000000012170: 85143C24
	v_readlane_b32 s82, v3, 1                                  // 000000012174: D2890052 00010303
	s_and_b32 s82, s82, 0xffffff                               // 00000001217C: 8652FF52 00FFFFFF
	s_cmp_lt_u32 s82, s66                                      // 000000012184: BF0A4252
	s_cselect_b32 s21, s36, s60                                // 000000012188: 85153C24
	s_mov_b64 exec, s[20:21]                                   // 00000001218C: BEFE0114
	global_atomic_add_f32 v6, v90, s[8:9] offset:8             // 000000012190: DD348008 00085A06
	global_atomic_add_f32 v6, v94, s[8:9] offset:264           // 000000012198: DD348108 00085E06
	s_mov_b64 exec, s[36:37]                                   // 0000000121A0: BEFE0124
	v_mov_b32_e32 v6, v67                                      // 0000000121A4: 7E0C0343
	s_mov_b64 s[60:61], 0                                      // 0000000121A8: BEBC0180
	v_readlane_b32 s82, v3, 2                                  // 0000000121AC: D2890052 00010503
	s_and_b32 s82, s82, 0xffffff                               // 0000000121B4: 8652FF52 00FFFFFF
	s_cmp_lt_u32 s82, s66                                      // 0000000121BC: BF0A4252
	s_cselect_b32 s20, s36, s60                                // 0000000121C0: 85143C24
	v_readlane_b32 s82, v3, 3                                  // 0000000121C4: D2890052 00010703
	s_and_b32 s82, s82, 0xffffff                               // 0000000121CC: 8652FF52 00FFFFFF
	s_cmp_lt_u32 s82, s66                                      // 0000000121D4: BF0A4252
	s_cselect_b32 s21, s36, s60                                // 0000000121D8: 85153C24
	s_mov_b64 exec, s[20:21]                                   // 0000000121DC: BEFE0114
	global_atomic_add_f32 v6, v91, s[8:9] offset:8             // 0000000121E0: DD348008 00085B06
	global_atomic_add_f32 v6, v95, s[8:9] offset:264           // 0000000121E8: DD348108 00085F06
	s_mov_b64 exec, s[36:37]                                   // 0000000121F0: BEFE0124
	v_mov_b32_e32 v6, v68                                      // 0000000121F4: 7E0C0344
	s_mov_b64 s[60:61], 0                                      // 0000000121F8: BEBC0180
	v_readlane_b32 s82, v3, 4                                  // 0000000121FC: D2890052 00010903
	s_and_b32 s82, s82, 0xffffff                               // 000000012204: 8652FF52 00FFFFFF
	s_cmp_lt_u32 s82, s66                                      // 00000001220C: BF0A4252
	s_cselect_b32 s20, s36, s60                                // 000000012210: 85143C24
	v_readlane_b32 s82, v3, 5                                  // 000000012214: D2890052 00010B03
	s_and_b32 s82, s82, 0xffffff                               // 00000001221C: 8652FF52 00FFFFFF
	s_cmp_lt_u32 s82, s66                                      // 000000012224: BF0A4252
	s_cselect_b32 s21, s36, s60                                // 000000012228: 85153C24
	s_mov_b64 exec, s[20:21]                                   // 00000001222C: BEFE0114
	global_atomic_add_f32 v6, v98, s[8:9] offset:8             // 000000012230: DD348008 00086206
	global_atomic_add_f32 v6, v102, s[8:9] offset:264          // 000000012238: DD348108 00086606
	s_mov_b64 exec, s[36:37]                                   // 000000012240: BEFE0124
	v_mov_b32_e32 v6, v69                                      // 000000012244: 7E0C0345
	s_mov_b64 s[60:61], 0                                      // 000000012248: BEBC0180
	v_readlane_b32 s82, v3, 6                                  // 00000001224C: D2890052 00010D03
	s_and_b32 s82, s82, 0xffffff                               // 000000012254: 8652FF52 00FFFFFF
	s_cmp_lt_u32 s82, s66                                      // 00000001225C: BF0A4252
	s_cselect_b32 s20, s36, s60                                // 000000012260: 85143C24
	v_readlane_b32 s82, v3, 7                                  // 000000012264: D2890052 00010F03
	s_and_b32 s82, s82, 0xffffff                               // 00000001226C: 8652FF52 00FFFFFF
	s_cmp_lt_u32 s82, s66                                      // 000000012274: BF0A4252
	s_cselect_b32 s21, s36, s60                                // 000000012278: 85153C24
	s_mov_b64 exec, s[20:21]                                   // 00000001227C: BEFE0114
	global_atomic_add_f32 v6, v99, s[8:9] offset:8             // 000000012280: DD348008 00086306
	global_atomic_add_f32 v6, v103, s[8:9] offset:264          // 000000012288: DD348108 00086706
	s_mov_b64 exec, s[36:37]                                   // 000000012290: BEFE0124
	v_mov_b32_e32 v6, v70                                      // 000000012294: 7E0C0346
	s_mov_b64 s[60:61], 0                                      // 000000012298: BEBC0180
	v_readlane_b32 s82, v3, 8                                  // 00000001229C: D2890052 00011103
	s_and_b32 s82, s82, 0xffffff                               // 0000000122A4: 8652FF52 00FFFFFF
	s_cmp_lt_u32 s82, s66                                      // 0000000122AC: BF0A4252
	s_cselect_b32 s20, s36, s60                                // 0000000122B0: 85143C24
	v_readlane_b32 s82, v3, 9                                  // 0000000122B4: D2890052 00011303
	s_and_b32 s82, s82, 0xffffff                               // 0000000122BC: 8652FF52 00FFFFFF
	s_cmp_lt_u32 s82, s66                                      // 0000000122C4: BF0A4252
	s_cselect_b32 s21, s36, s60                                // 0000000122C8: 85153C24
	s_mov_b64 exec, s[20:21]                                   // 0000000122CC: BEFE0114
	global_atomic_add_f32 v6, v106, s[8:9] offset:8            // 0000000122D0: DD348008 00086A06
	global_atomic_add_f32 v6, v110, s[8:9] offset:264          // 0000000122D8: DD348108 00086E06
	s_mov_b64 exec, s[36:37]                                   // 0000000122E0: BEFE0124
	v_mov_b32_e32 v6, v71                                      // 0000000122E4: 7E0C0347
	s_mov_b64 s[60:61], 0                                      // 0000000122E8: BEBC0180
	v_readlane_b32 s82, v3, 10                                 // 0000000122EC: D2890052 00011503
	s_and_b32 s82, s82, 0xffffff                               // 0000000122F4: 8652FF52 00FFFFFF
	s_cmp_lt_u32 s82, s66                                      // 0000000122FC: BF0A4252
	s_cselect_b32 s20, s36, s60                                // 000000012300: 85143C24
	v_readlane_b32 s82, v3, 11                                 // 000000012304: D2890052 00011703
	s_and_b32 s82, s82, 0xffffff                               // 00000001230C: 8652FF52 00FFFFFF
	s_cmp_lt_u32 s82, s66                                      // 000000012314: BF0A4252
	s_cselect_b32 s21, s36, s60                                // 000000012318: 85153C24
	s_mov_b64 exec, s[20:21]                                   // 00000001231C: BEFE0114
	global_atomic_add_f32 v6, v107, s[8:9] offset:8            // 000000012320: DD348008 00086B06
	global_atomic_add_f32 v6, v111, s[8:9] offset:264          // 000000012328: DD348108 00086F06
	s_mov_b64 exec, s[36:37]                                   // 000000012330: BEFE0124
	v_mov_b32_e32 v6, v72                                      // 000000012334: 7E0C0348
	s_mov_b64 s[60:61], 0                                      // 000000012338: BEBC0180
	v_readlane_b32 s82, v3, 12                                 // 00000001233C: D2890052 00011903
	s_and_b32 s82, s82, 0xffffff                               // 000000012344: 8652FF52 00FFFFFF
	s_cmp_lt_u32 s82, s66                                      // 00000001234C: BF0A4252
	s_cselect_b32 s20, s36, s60                                // 000000012350: 85143C24
	v_readlane_b32 s82, v3, 13                                 // 000000012354: D2890052 00011B03
	s_and_b32 s82, s82, 0xffffff                               // 00000001235C: 8652FF52 00FFFFFF
	s_cmp_lt_u32 s82, s66                                      // 000000012364: BF0A4252
	s_cselect_b32 s21, s36, s60                                // 000000012368: 85153C24
	s_mov_b64 exec, s[20:21]                                   // 00000001236C: BEFE0114
	global_atomic_add_f32 v6, v114, s[8:9] offset:8            // 000000012370: DD348008 00087206
	global_atomic_add_f32 v6, v118, s[8:9] offset:264          // 000000012378: DD348108 00087606
	s_mov_b64 exec, s[36:37]                                   // 000000012380: BEFE0124
	v_mov_b32_e32 v6, v73                                      // 000000012384: 7E0C0349
	s_mov_b64 s[60:61], 0                                      // 000000012388: BEBC0180
	v_readlane_b32 s82, v3, 14                                 // 00000001238C: D2890052 00011D03
	s_and_b32 s82, s82, 0xffffff                               // 000000012394: 8652FF52 00FFFFFF
	s_cmp_lt_u32 s82, s66                                      // 00000001239C: BF0A4252
	s_cselect_b32 s20, s36, s60                                // 0000000123A0: 85143C24
	v_readlane_b32 s82, v3, 15                                 // 0000000123A4: D2890052 00011F03
	s_and_b32 s82, s82, 0xffffff                               // 0000000123AC: 8652FF52 00FFFFFF
	s_cmp_lt_u32 s82, s66                                      // 0000000123B4: BF0A4252
	s_cselect_b32 s21, s36, s60                                // 0000000123B8: 85153C24
	s_mov_b64 exec, s[20:21]                                   // 0000000123BC: BEFE0114
	global_atomic_add_f32 v6, v115, s[8:9] offset:8            // 0000000123C0: DD348008 00087306
	global_atomic_add_f32 v6, v119, s[8:9] offset:264          // 0000000123C8: DD348108 00087706
	s_mov_b64 exec, s[36:37]                                   // 0000000123D0: BEFE0124
	v_mov_b32_e32 v6, v74                                      // 0000000123D4: 7E0C034A
	s_mov_b64 s[60:61], 0                                      // 0000000123D8: BEBC0180
	v_readlane_b32 s82, v3, 16                                 // 0000000123DC: D2890052 00012103
	s_and_b32 s82, s82, 0xffffff                               // 0000000123E4: 8652FF52 00FFFFFF
	s_cmp_lt_u32 s82, s66                                      // 0000000123EC: BF0A4252
	s_cselect_b32 s20, s36, s60                                // 0000000123F0: 85143C24
	v_readlane_b32 s82, v3, 17                                 // 0000000123F4: D2890052 00012303
	s_and_b32 s82, s82, 0xffffff                               // 0000000123FC: 8652FF52 00FFFFFF
	s_cmp_lt_u32 s82, s66                                      // 000000012404: BF0A4252
	s_cselect_b32 s21, s36, s60                                // 000000012408: 85153C24
	s_mov_b64 exec, s[20:21]                                   // 00000001240C: BEFE0114
	global_atomic_add_f32 v6, v122, s[8:9] offset:8            // 000000012410: DD348008 00087A06
	global_atomic_add_f32 v6, v126, s[8:9] offset:264          // 000000012418: DD348108 00087E06
	s_mov_b64 exec, s[36:37]                                   // 000000012420: BEFE0124
	v_mov_b32_e32 v6, v75                                      // 000000012424: 7E0C034B
	s_mov_b64 s[60:61], 0                                      // 000000012428: BEBC0180
	v_readlane_b32 s82, v3, 18                                 // 00000001242C: D2890052 00012503
	s_and_b32 s82, s82, 0xffffff                               // 000000012434: 8652FF52 00FFFFFF
	s_cmp_lt_u32 s82, s66                                      // 00000001243C: BF0A4252
	s_cselect_b32 s20, s36, s60                                // 000000012440: 85143C24
	v_readlane_b32 s82, v3, 19                                 // 000000012444: D2890052 00012703
	s_and_b32 s82, s82, 0xffffff                               // 00000001244C: 8652FF52 00FFFFFF
	s_cmp_lt_u32 s82, s66                                      // 000000012454: BF0A4252
	s_cselect_b32 s21, s36, s60                                // 000000012458: 85153C24
	s_mov_b64 exec, s[20:21]                                   // 00000001245C: BEFE0114
	global_atomic_add_f32 v6, v123, s[8:9] offset:8            // 000000012460: DD348008 00087B06
	global_atomic_add_f32 v6, v127, s[8:9] offset:264          // 000000012468: DD348108 00087F06
	s_mov_b64 exec, s[36:37]                                   // 000000012470: BEFE0124
	v_mov_b32_e32 v6, v76                                      // 000000012474: 7E0C034C
	s_mov_b64 s[60:61], 0                                      // 000000012478: BEBC0180
	v_readlane_b32 s82, v3, 20                                 // 00000001247C: D2890052 00012903
	s_and_b32 s82, s82, 0xffffff                               // 000000012484: 8652FF52 00FFFFFF
	s_cmp_lt_u32 s82, s66                                      // 00000001248C: BF0A4252
	s_cselect_b32 s20, s36, s60                                // 000000012490: 85143C24
	v_readlane_b32 s82, v3, 21                                 // 000000012494: D2890052 00012B03
	s_and_b32 s82, s82, 0xffffff                               // 00000001249C: 8652FF52 00FFFFFF
	s_cmp_lt_u32 s82, s66                                      // 0000000124A4: BF0A4252
	s_cselect_b32 s21, s36, s60                                // 0000000124A8: 85153C24
	s_mov_b64 exec, s[20:21]                                   // 0000000124AC: BEFE0114
	global_atomic_add_f32 v6, v130, s[8:9] offset:8            // 0000000124B0: DD348008 00088206
	global_atomic_add_f32 v6, v134, s[8:9] offset:264          // 0000000124B8: DD348108 00088606
	s_mov_b64 exec, s[36:37]                                   // 0000000124C0: BEFE0124
	v_mov_b32_e32 v6, v77                                      // 0000000124C4: 7E0C034D
	s_mov_b64 s[60:61], 0                                      // 0000000124C8: BEBC0180
	v_readlane_b32 s82, v3, 22                                 // 0000000124CC: D2890052 00012D03
	s_and_b32 s82, s82, 0xffffff                               // 0000000124D4: 8652FF52 00FFFFFF
	s_cmp_lt_u32 s82, s66                                      // 0000000124DC: BF0A4252
	s_cselect_b32 s20, s36, s60                                // 0000000124E0: 85143C24
	v_readlane_b32 s82, v3, 23                                 // 0000000124E4: D2890052 00012F03
	s_and_b32 s82, s82, 0xffffff                               // 0000000124EC: 8652FF52 00FFFFFF
	s_cmp_lt_u32 s82, s66                                      // 0000000124F4: BF0A4252
	s_cselect_b32 s21, s36, s60                                // 0000000124F8: 85153C24
	s_mov_b64 exec, s[20:21]                                   // 0000000124FC: BEFE0114
	global_atomic_add_f32 v6, v131, s[8:9] offset:8            // 000000012500: DD348008 00088306
	global_atomic_add_f32 v6, v135, s[8:9] offset:264          // 000000012508: DD348108 00088706
	s_mov_b64 exec, s[36:37]                                   // 000000012510: BEFE0124
	v_mov_b32_e32 v6, v78                                      // 000000012514: 7E0C034E
	s_mov_b64 s[60:61], 0                                      // 000000012518: BEBC0180
	v_readlane_b32 s82, v3, 24                                 // 00000001251C: D2890052 00013103
	s_and_b32 s82, s82, 0xffffff                               // 000000012524: 8652FF52 00FFFFFF
	s_cmp_lt_u32 s82, s66                                      // 00000001252C: BF0A4252
	s_cselect_b32 s20, s36, s60                                // 000000012530: 85143C24
	v_readlane_b32 s82, v3, 25                                 // 000000012534: D2890052 00013303
	s_and_b32 s82, s82, 0xffffff                               // 00000001253C: 8652FF52 00FFFFFF
	s_cmp_lt_u32 s82, s66                                      // 000000012544: BF0A4252
	s_cselect_b32 s21, s36, s60                                // 000000012548: 85153C24
	s_mov_b64 exec, s[20:21]                                   // 00000001254C: BEFE0114
	global_atomic_add_f32 v6, v138, s[8:9] offset:8            // 000000012550: DD348008 00088A06
	global_atomic_add_f32 v6, v142, s[8:9] offset:264          // 000000012558: DD348108 00088E06
	s_mov_b64 exec, s[36:37]                                   // 000000012560: BEFE0124
	v_mov_b32_e32 v6, v79                                      // 000000012564: 7E0C034F
	s_mov_b64 s[60:61], 0                                      // 000000012568: BEBC0180
	v_readlane_b32 s82, v3, 26                                 // 00000001256C: D2890052 00013503
	s_and_b32 s82, s82, 0xffffff                               // 000000012574: 8652FF52 00FFFFFF
	s_cmp_lt_u32 s82, s66                                      // 00000001257C: BF0A4252
	s_cselect_b32 s20, s36, s60                                // 000000012580: 85143C24
	v_readlane_b32 s82, v3, 27                                 // 000000012584: D2890052 00013703
	s_and_b32 s82, s82, 0xffffff                               // 00000001258C: 8652FF52 00FFFFFF
	s_cmp_lt_u32 s82, s66                                      // 000000012594: BF0A4252
	s_cselect_b32 s21, s36, s60                                // 000000012598: 85153C24
	s_mov_b64 exec, s[20:21]                                   // 00000001259C: BEFE0114
	global_atomic_add_f32 v6, v139, s[8:9] offset:8            // 0000000125A0: DD348008 00088B06
	global_atomic_add_f32 v6, v143, s[8:9] offset:264          // 0000000125A8: DD348108 00088F06
	s_mov_b64 exec, s[36:37]                                   // 0000000125B0: BEFE0124
	v_mov_b32_e32 v6, v80                                      // 0000000125B4: 7E0C0350
	s_mov_b64 s[60:61], 0                                      // 0000000125B8: BEBC0180
	v_readlane_b32 s82, v3, 28                                 // 0000000125BC: D2890052 00013903
	s_and_b32 s82, s82, 0xffffff                               // 0000000125C4: 8652FF52 00FFFFFF
	s_cmp_lt_u32 s82, s66                                      // 0000000125CC: BF0A4252
	s_cselect_b32 s20, s36, s60                                // 0000000125D0: 85143C24
	v_readlane_b32 s82, v3, 29                                 // 0000000125D4: D2890052 00013B03
	s_and_b32 s82, s82, 0xffffff                               // 0000000125DC: 8652FF52 00FFFFFF
	s_cmp_lt_u32 s82, s66                                      // 0000000125E4: BF0A4252
	s_cselect_b32 s21, s36, s60                                // 0000000125E8: 85153C24
	s_mov_b64 exec, s[20:21]                                   // 0000000125EC: BEFE0114
	global_atomic_add_f32 v6, v146, s[8:9] offset:8            // 0000000125F0: DD348008 00089206
	global_atomic_add_f32 v6, v150, s[8:9] offset:264          // 0000000125F8: DD348108 00089606
	s_mov_b64 exec, s[36:37]                                   // 000000012600: BEFE0124
	v_mov_b32_e32 v6, v81                                      // 000000012604: 7E0C0351
	s_mov_b64 s[60:61], 0                                      // 000000012608: BEBC0180
	v_readlane_b32 s82, v3, 30                                 // 00000001260C: D2890052 00013D03
	s_and_b32 s82, s82, 0xffffff                               // 000000012614: 8652FF52 00FFFFFF
	s_cmp_lt_u32 s82, s66                                      // 00000001261C: BF0A4252
	s_cselect_b32 s20, s36, s60                                // 000000012620: 85143C24
	v_readlane_b32 s82, v3, 31                                 // 000000012624: D2890052 00013F03
	s_and_b32 s82, s82, 0xffffff                               // 00000001262C: 8652FF52 00FFFFFF
	s_cmp_lt_u32 s82, s66                                      // 000000012634: BF0A4252
	s_cselect_b32 s21, s36, s60                                // 000000012638: 85153C24
	s_mov_b64 exec, s[20:21]                                   // 00000001263C: BEFE0114
	global_atomic_add_f32 v6, v147, s[8:9] offset:8            // 000000012640: DD348008 00089306
	global_atomic_add_f32 v6, v151, s[8:9] offset:264          // 000000012648: DD348108 00089706
	s_mov_b64 exec, s[36:37]                                   // 000000012650: BEFE0124
	v_mov_b32_e32 v6, v82                                      // 000000012654: 7E0C0352
	s_mov_b64 s[60:61], 0                                      // 000000012658: BEBC0180
	v_readlane_b32 s82, v3, 32                                 // 00000001265C: D2890052 00014103
	s_and_b32 s82, s82, 0xffffff                               // 000000012664: 8652FF52 00FFFFFF
	s_cmp_lt_u32 s82, s66                                      // 00000001266C: BF0A4252
	s_cselect_b32 s20, s36, s60                                // 000000012670: 85143C24
	v_readlane_b32 s82, v3, 33                                 // 000000012674: D2890052 00014303
	s_and_b32 s82, s82, 0xffffff                               // 00000001267C: 8652FF52 00FFFFFF
	s_cmp_lt_u32 s82, s66                                      // 000000012684: BF0A4252
	s_cselect_b32 s21, s36, s60                                // 000000012688: 85153C24
	s_mov_b64 exec, s[20:21]                                   // 00000001268C: BEFE0114
	global_atomic_add_f32 v6, v154, s[8:9] offset:8            // 000000012690: DD348008 00089A06
	global_atomic_add_f32 v6, v158, s[8:9] offset:264          // 000000012698: DD348108 00089E06
	s_mov_b64 exec, s[36:37]                                   // 0000000126A0: BEFE0124
	v_mov_b32_e32 v6, v83                                      // 0000000126A4: 7E0C0353
	s_mov_b64 s[60:61], 0                                      // 0000000126A8: BEBC0180
	v_readlane_b32 s82, v3, 34                                 // 0000000126AC: D2890052 00014503
	s_and_b32 s82, s82, 0xffffff                               // 0000000126B4: 8652FF52 00FFFFFF
	s_cmp_lt_u32 s82, s66                                      // 0000000126BC: BF0A4252
	s_cselect_b32 s20, s36, s60                                // 0000000126C0: 85143C24
	v_readlane_b32 s82, v3, 35                                 // 0000000126C4: D2890052 00014703
	s_and_b32 s82, s82, 0xffffff                               // 0000000126CC: 8652FF52 00FFFFFF
	s_cmp_lt_u32 s82, s66                                      // 0000000126D4: BF0A4252
	s_cselect_b32 s21, s36, s60                                // 0000000126D8: 85153C24
	s_mov_b64 exec, s[20:21]                                   // 0000000126DC: BEFE0114
	global_atomic_add_f32 v6, v155, s[8:9] offset:8            // 0000000126E0: DD348008 00089B06
	global_atomic_add_f32 v6, v159, s[8:9] offset:264          // 0000000126E8: DD348108 00089F06
	s_mov_b64 exec, s[36:37]                                   // 0000000126F0: BEFE0124
	ds_write_b64 v20, v[160:161]                               // 0000000126F4: D89A0000 0000A014
	ds_write_b64 v20, v[164:165] offset:4352                   // 0000000126FC: D89A1100 0000A414
	ds_write_b64 v20, v[168:169] offset:8704                   // 000000012704: D89A2200 0000A814
	ds_write_b64 v20, v[172:173] offset:13056                  // 00000001270C: D89A3300 0000AC14
	ds_write_b64 v20, v[176:177] offset:17408                  // 000000012714: D89A4400 0000B014
	ds_write_b64 v20, v[180:181] offset:21760                  // 00000001271C: D89A5500 0000B414
	ds_write_b64 v20, v[184:185] offset:26112                  // 000000012724: D89A6600 0000B814
	ds_write_b64 v20, v[188:189] offset:30464                  // 00000001272C: D89A7700 0000BC14
	ds_write_b64 v20, v[192:193] offset:34816                  // 000000012734: D89A8800 0000C014
	ds_write_b64 v20, v[196:197] offset:2176                   // 00000001273C: D89A0880 0000C414
	ds_write_b64 v20, v[200:201] offset:6528                   // 000000012744: D89A1980 0000C814
	ds_write_b64 v20, v[204:205] offset:10880                  // 00000001274C: D89A2A80 0000CC14
	ds_write_b64 v20, v[208:209] offset:15232                  // 000000012754: D89A3B80 0000D014
	ds_write_b64 v20, v[212:213] offset:19584                  // 00000001275C: D89A4C80 0000D414
	ds_write_b64 v20, v[216:217] offset:23936                  // 000000012764: D89A5D80 0000D814
	ds_write_b64 v20, v[220:221] offset:28288                  // 00000001276C: D89A6E80 0000DC14
	ds_write_b64 v20, v[224:225] offset:32640                  // 000000012774: D89A7F80 0000E014
	ds_write_b64 v20, v[228:229] offset:36992                  // 00000001277C: D89A9080 0000E414
	s_waitcnt lgkmcnt(0)                                       // 000000012784: BF8CC07F
	s_barrier                                                  // 000000012788: BF8A0000
	ds_read_b32 v160, v21                                      // 00000001278C: D86C0000 A0000015
	ds_read_b32 v161, v21 offset:64                            // 000000012794: D86C0040 A1000015
	ds_read_b32 v164, v21 offset:2176                          // 00000001279C: D86C0880 A4000015
	ds_read_b32 v165, v21 offset:2240                          // 0000000127A4: D86C08C0 A5000015
	ds_read_b32 v168, v21 offset:4352                          // 0000000127AC: D86C1100 A8000015
	ds_read_b32 v169, v21 offset:4416                          // 0000000127B4: D86C1140 A9000015
	ds_read_b32 v172, v21 offset:6528                          // 0000000127BC: D86C1980 AC000015
	ds_read_b32 v173, v21 offset:6592                          // 0000000127C4: D86C19C0 AD000015
	ds_read_b32 v176, v21 offset:8704                          // 0000000127CC: D86C2200 B0000015
	ds_read_b32 v177, v21 offset:8768                          // 0000000127D4: D86C2240 B1000015
	ds_read_b32 v180, v21 offset:10880                         // 0000000127DC: D86C2A80 B4000015
	ds_read_b32 v181, v21 offset:10944                         // 0000000127E4: D86C2AC0 B5000015
	ds_read_b32 v184, v21 offset:13056                         // 0000000127EC: D86C3300 B8000015
	ds_read_b32 v185, v21 offset:13120                         // 0000000127F4: D86C3340 B9000015
	ds_read_b32 v188, v21 offset:15232                         // 0000000127FC: D86C3B80 BC000015
	ds_read_b32 v189, v21 offset:15296                         // 000000012804: D86C3BC0 BD000015
	ds_read_b32 v192, v21 offset:17408                         // 00000001280C: D86C4400 C0000015
	ds_read_b32 v193, v21 offset:17472                         // 000000012814: D86C4440 C1000015
	ds_read_b32 v196, v21 offset:19584                         // 00000001281C: D86C4C80 C4000015
	ds_read_b32 v197, v21 offset:19648                         // 000000012824: D86C4CC0 C5000015
	ds_read_b32 v200, v21 offset:21760                         // 00000001282C: D86C5500 C8000015
	ds_read_b32 v201, v21 offset:21824                         // 000000012834: D86C5540 C9000015
	ds_read_b32 v204, v21 offset:23936                         // 00000001283C: D86C5D80 CC000015
	ds_read_b32 v205, v21 offset:24000                         // 000000012844: D86C5DC0 CD000015
	ds_read_b32 v208, v21 offset:26112                         // 00000001284C: D86C6600 D0000015
	ds_read_b32 v209, v21 offset:26176                         // 000000012854: D86C6640 D1000015
	ds_read_b32 v212, v21 offset:28288                         // 00000001285C: D86C6E80 D4000015
	ds_read_b32 v213, v21 offset:28352                         // 000000012864: D86C6EC0 D5000015
	ds_read_b32 v216, v21 offset:30464                         // 00000001286C: D86C7700 D8000015
	ds_read_b32 v217, v21 offset:30528                         // 000000012874: D86C7740 D9000015
	ds_read_b32 v220, v21 offset:32640                         // 00000001287C: D86C7F80 DC000015
	ds_read_b32 v221, v21 offset:32704                         // 000000012884: D86C7FC0 DD000015
	ds_read_b32 v224, v21 offset:34816                         // 00000001288C: D86C8800 E0000015
	ds_read_b32 v225, v21 offset:34880                         // 000000012894: D86C8840 E1000015
	ds_read_b32 v228, v21 offset:36992                         // 00000001289C: D86C9080 E4000015
	ds_read_b32 v229, v21 offset:37056                         // 0000000128A4: D86C90C0 E5000015
	s_mul_i32 s60, s65, 4                                      // 0000000128AC: 923C8441
	s_add_u32 s8, s60, s8                                      // 0000000128B0: 8008083C
	s_addc_u32 s9, 0, s9                                       // 0000000128B4: 82090980
	s_waitcnt lgkmcnt(0)                                       // 0000000128B8: BF8CC07F
	v_mov_b32_e32 v7, 0                                        // 0000000128BC: 7E0E0280
	s_mov_b64 exec, s[36:37]                                   // 0000000128C0: BEFE0124
	v_mov_b32_e32 v6, v66                                      // 0000000128C4: 7E0C0342
	s_mov_b64 s[60:61], 0                                      // 0000000128C8: BEBC0180
	v_readlane_b32 s82, v3, 0                                  // 0000000128CC: D2890052 00010103
	s_and_b32 s82, s82, 0xffffff                               // 0000000128D4: 8652FF52 00FFFFFF
	s_cmp_lt_u32 s82, s66                                      // 0000000128DC: BF0A4252
	s_cselect_b32 s20, s36, s60                                // 0000000128E0: 85143C24
	v_readlane_b32 s82, v3, 1                                  // 0000000128E4: D2890052 00010303
	s_and_b32 s82, s82, 0xffffff                               // 0000000128EC: 8652FF52 00FFFFFF
	s_cmp_lt_u32 s82, s66                                      // 0000000128F4: BF0A4252
	s_cselect_b32 s21, s36, s60                                // 0000000128F8: 85153C24
	s_mov_b64 exec, s[20:21]                                   // 0000000128FC: BEFE0114
	global_atomic_add_f32 v6, v160, s[8:9]                     // 000000012900: DD348000 0008A006
	global_atomic_add_f32 v6, v164, s[8:9] offset:256          // 000000012908: DD348100 0008A406
	s_mov_b64 exec, s[36:37]                                   // 000000012910: BEFE0124
	v_mov_b32_e32 v6, v67                                      // 000000012914: 7E0C0343
	s_mov_b64 s[60:61], 0                                      // 000000012918: BEBC0180
	v_readlane_b32 s82, v3, 2                                  // 00000001291C: D2890052 00010503
	s_and_b32 s82, s82, 0xffffff                               // 000000012924: 8652FF52 00FFFFFF
	s_cmp_lt_u32 s82, s66                                      // 00000001292C: BF0A4252
	s_cselect_b32 s20, s36, s60                                // 000000012930: 85143C24
	v_readlane_b32 s82, v3, 3                                  // 000000012934: D2890052 00010703
	s_and_b32 s82, s82, 0xffffff                               // 00000001293C: 8652FF52 00FFFFFF
	s_cmp_lt_u32 s82, s66                                      // 000000012944: BF0A4252
	s_cselect_b32 s21, s36, s60                                // 000000012948: 85153C24
	s_mov_b64 exec, s[20:21]                                   // 00000001294C: BEFE0114
	global_atomic_add_f32 v6, v161, s[8:9]                     // 000000012950: DD348000 0008A106
	global_atomic_add_f32 v6, v165, s[8:9] offset:256          // 000000012958: DD348100 0008A506
	s_mov_b64 exec, s[36:37]                                   // 000000012960: BEFE0124
	v_mov_b32_e32 v6, v68                                      // 000000012964: 7E0C0344
	s_mov_b64 s[60:61], 0                                      // 000000012968: BEBC0180
	v_readlane_b32 s82, v3, 4                                  // 00000001296C: D2890052 00010903
	s_and_b32 s82, s82, 0xffffff                               // 000000012974: 8652FF52 00FFFFFF
	s_cmp_lt_u32 s82, s66                                      // 00000001297C: BF0A4252
	s_cselect_b32 s20, s36, s60                                // 000000012980: 85143C24
	v_readlane_b32 s82, v3, 5                                  // 000000012984: D2890052 00010B03
	s_and_b32 s82, s82, 0xffffff                               // 00000001298C: 8652FF52 00FFFFFF
	s_cmp_lt_u32 s82, s66                                      // 000000012994: BF0A4252
	s_cselect_b32 s21, s36, s60                                // 000000012998: 85153C24
	s_mov_b64 exec, s[20:21]                                   // 00000001299C: BEFE0114
	global_atomic_add_f32 v6, v168, s[8:9]                     // 0000000129A0: DD348000 0008A806
	global_atomic_add_f32 v6, v172, s[8:9] offset:256          // 0000000129A8: DD348100 0008AC06
	s_mov_b64 exec, s[36:37]                                   // 0000000129B0: BEFE0124
	v_mov_b32_e32 v6, v69                                      // 0000000129B4: 7E0C0345
	s_mov_b64 s[60:61], 0                                      // 0000000129B8: BEBC0180
	v_readlane_b32 s82, v3, 6                                  // 0000000129BC: D2890052 00010D03
	s_and_b32 s82, s82, 0xffffff                               // 0000000129C4: 8652FF52 00FFFFFF
	s_cmp_lt_u32 s82, s66                                      // 0000000129CC: BF0A4252
	s_cselect_b32 s20, s36, s60                                // 0000000129D0: 85143C24
	v_readlane_b32 s82, v3, 7                                  // 0000000129D4: D2890052 00010F03
	s_and_b32 s82, s82, 0xffffff                               // 0000000129DC: 8652FF52 00FFFFFF
	s_cmp_lt_u32 s82, s66                                      // 0000000129E4: BF0A4252
	s_cselect_b32 s21, s36, s60                                // 0000000129E8: 85153C24
	s_mov_b64 exec, s[20:21]                                   // 0000000129EC: BEFE0114
	global_atomic_add_f32 v6, v169, s[8:9]                     // 0000000129F0: DD348000 0008A906
	global_atomic_add_f32 v6, v173, s[8:9] offset:256          // 0000000129F8: DD348100 0008AD06
	s_mov_b64 exec, s[36:37]                                   // 000000012A00: BEFE0124
	v_mov_b32_e32 v6, v70                                      // 000000012A04: 7E0C0346
	s_mov_b64 s[60:61], 0                                      // 000000012A08: BEBC0180
	v_readlane_b32 s82, v3, 8                                  // 000000012A0C: D2890052 00011103
	s_and_b32 s82, s82, 0xffffff                               // 000000012A14: 8652FF52 00FFFFFF
	s_cmp_lt_u32 s82, s66                                      // 000000012A1C: BF0A4252
	s_cselect_b32 s20, s36, s60                                // 000000012A20: 85143C24
	v_readlane_b32 s82, v3, 9                                  // 000000012A24: D2890052 00011303
	s_and_b32 s82, s82, 0xffffff                               // 000000012A2C: 8652FF52 00FFFFFF
	s_cmp_lt_u32 s82, s66                                      // 000000012A34: BF0A4252
	s_cselect_b32 s21, s36, s60                                // 000000012A38: 85153C24
	s_mov_b64 exec, s[20:21]                                   // 000000012A3C: BEFE0114
	global_atomic_add_f32 v6, v176, s[8:9]                     // 000000012A40: DD348000 0008B006
	global_atomic_add_f32 v6, v180, s[8:9] offset:256          // 000000012A48: DD348100 0008B406
	s_mov_b64 exec, s[36:37]                                   // 000000012A50: BEFE0124
	v_mov_b32_e32 v6, v71                                      // 000000012A54: 7E0C0347
	s_mov_b64 s[60:61], 0                                      // 000000012A58: BEBC0180
	v_readlane_b32 s82, v3, 10                                 // 000000012A5C: D2890052 00011503
	s_and_b32 s82, s82, 0xffffff                               // 000000012A64: 8652FF52 00FFFFFF
	s_cmp_lt_u32 s82, s66                                      // 000000012A6C: BF0A4252
	s_cselect_b32 s20, s36, s60                                // 000000012A70: 85143C24
	v_readlane_b32 s82, v3, 11                                 // 000000012A74: D2890052 00011703
	s_and_b32 s82, s82, 0xffffff                               // 000000012A7C: 8652FF52 00FFFFFF
	s_cmp_lt_u32 s82, s66                                      // 000000012A84: BF0A4252
	s_cselect_b32 s21, s36, s60                                // 000000012A88: 85153C24
	s_mov_b64 exec, s[20:21]                                   // 000000012A8C: BEFE0114
	global_atomic_add_f32 v6, v177, s[8:9]                     // 000000012A90: DD348000 0008B106
	global_atomic_add_f32 v6, v181, s[8:9] offset:256          // 000000012A98: DD348100 0008B506
	s_mov_b64 exec, s[36:37]                                   // 000000012AA0: BEFE0124
	v_mov_b32_e32 v6, v72                                      // 000000012AA4: 7E0C0348
	s_mov_b64 s[60:61], 0                                      // 000000012AA8: BEBC0180
	v_readlane_b32 s82, v3, 12                                 // 000000012AAC: D2890052 00011903
	s_and_b32 s82, s82, 0xffffff                               // 000000012AB4: 8652FF52 00FFFFFF
	s_cmp_lt_u32 s82, s66                                      // 000000012ABC: BF0A4252
	s_cselect_b32 s20, s36, s60                                // 000000012AC0: 85143C24
	v_readlane_b32 s82, v3, 13                                 // 000000012AC4: D2890052 00011B03
	s_and_b32 s82, s82, 0xffffff                               // 000000012ACC: 8652FF52 00FFFFFF
	s_cmp_lt_u32 s82, s66                                      // 000000012AD4: BF0A4252
	s_cselect_b32 s21, s36, s60                                // 000000012AD8: 85153C24
	s_mov_b64 exec, s[20:21]                                   // 000000012ADC: BEFE0114
	global_atomic_add_f32 v6, v184, s[8:9]                     // 000000012AE0: DD348000 0008B806
	global_atomic_add_f32 v6, v188, s[8:9] offset:256          // 000000012AE8: DD348100 0008BC06
	s_mov_b64 exec, s[36:37]                                   // 000000012AF0: BEFE0124
	v_mov_b32_e32 v6, v73                                      // 000000012AF4: 7E0C0349
	s_mov_b64 s[60:61], 0                                      // 000000012AF8: BEBC0180
	v_readlane_b32 s82, v3, 14                                 // 000000012AFC: D2890052 00011D03
	s_and_b32 s82, s82, 0xffffff                               // 000000012B04: 8652FF52 00FFFFFF
	s_cmp_lt_u32 s82, s66                                      // 000000012B0C: BF0A4252
	s_cselect_b32 s20, s36, s60                                // 000000012B10: 85143C24
	v_readlane_b32 s82, v3, 15                                 // 000000012B14: D2890052 00011F03
	s_and_b32 s82, s82, 0xffffff                               // 000000012B1C: 8652FF52 00FFFFFF
	s_cmp_lt_u32 s82, s66                                      // 000000012B24: BF0A4252
	s_cselect_b32 s21, s36, s60                                // 000000012B28: 85153C24
	s_mov_b64 exec, s[20:21]                                   // 000000012B2C: BEFE0114
	global_atomic_add_f32 v6, v185, s[8:9]                     // 000000012B30: DD348000 0008B906
	global_atomic_add_f32 v6, v189, s[8:9] offset:256          // 000000012B38: DD348100 0008BD06
	s_mov_b64 exec, s[36:37]                                   // 000000012B40: BEFE0124
	v_mov_b32_e32 v6, v74                                      // 000000012B44: 7E0C034A
	s_mov_b64 s[60:61], 0                                      // 000000012B48: BEBC0180
	v_readlane_b32 s82, v3, 16                                 // 000000012B4C: D2890052 00012103
	s_and_b32 s82, s82, 0xffffff                               // 000000012B54: 8652FF52 00FFFFFF
	s_cmp_lt_u32 s82, s66                                      // 000000012B5C: BF0A4252
	s_cselect_b32 s20, s36, s60                                // 000000012B60: 85143C24
	v_readlane_b32 s82, v3, 17                                 // 000000012B64: D2890052 00012303
	s_and_b32 s82, s82, 0xffffff                               // 000000012B6C: 8652FF52 00FFFFFF
	s_cmp_lt_u32 s82, s66                                      // 000000012B74: BF0A4252
	s_cselect_b32 s21, s36, s60                                // 000000012B78: 85153C24
	s_mov_b64 exec, s[20:21]                                   // 000000012B7C: BEFE0114
	global_atomic_add_f32 v6, v192, s[8:9]                     // 000000012B80: DD348000 0008C006
	global_atomic_add_f32 v6, v196, s[8:9] offset:256          // 000000012B88: DD348100 0008C406
	s_mov_b64 exec, s[36:37]                                   // 000000012B90: BEFE0124
	v_mov_b32_e32 v6, v75                                      // 000000012B94: 7E0C034B
	s_mov_b64 s[60:61], 0                                      // 000000012B98: BEBC0180
	v_readlane_b32 s82, v3, 18                                 // 000000012B9C: D2890052 00012503
	s_and_b32 s82, s82, 0xffffff                               // 000000012BA4: 8652FF52 00FFFFFF
	s_cmp_lt_u32 s82, s66                                      // 000000012BAC: BF0A4252
	s_cselect_b32 s20, s36, s60                                // 000000012BB0: 85143C24
	v_readlane_b32 s82, v3, 19                                 // 000000012BB4: D2890052 00012703
	s_and_b32 s82, s82, 0xffffff                               // 000000012BBC: 8652FF52 00FFFFFF
	s_cmp_lt_u32 s82, s66                                      // 000000012BC4: BF0A4252
	s_cselect_b32 s21, s36, s60                                // 000000012BC8: 85153C24
	s_mov_b64 exec, s[20:21]                                   // 000000012BCC: BEFE0114
	global_atomic_add_f32 v6, v193, s[8:9]                     // 000000012BD0: DD348000 0008C106
	global_atomic_add_f32 v6, v197, s[8:9] offset:256          // 000000012BD8: DD348100 0008C506
	s_mov_b64 exec, s[36:37]                                   // 000000012BE0: BEFE0124
	v_mov_b32_e32 v6, v76                                      // 000000012BE4: 7E0C034C
	s_mov_b64 s[60:61], 0                                      // 000000012BE8: BEBC0180
	v_readlane_b32 s82, v3, 20                                 // 000000012BEC: D2890052 00012903
	s_and_b32 s82, s82, 0xffffff                               // 000000012BF4: 8652FF52 00FFFFFF
	s_cmp_lt_u32 s82, s66                                      // 000000012BFC: BF0A4252
	s_cselect_b32 s20, s36, s60                                // 000000012C00: 85143C24
	v_readlane_b32 s82, v3, 21                                 // 000000012C04: D2890052 00012B03
	s_and_b32 s82, s82, 0xffffff                               // 000000012C0C: 8652FF52 00FFFFFF
	s_cmp_lt_u32 s82, s66                                      // 000000012C14: BF0A4252
	s_cselect_b32 s21, s36, s60                                // 000000012C18: 85153C24
	s_mov_b64 exec, s[20:21]                                   // 000000012C1C: BEFE0114
	global_atomic_add_f32 v6, v200, s[8:9]                     // 000000012C20: DD348000 0008C806
	global_atomic_add_f32 v6, v204, s[8:9] offset:256          // 000000012C28: DD348100 0008CC06
	s_mov_b64 exec, s[36:37]                                   // 000000012C30: BEFE0124
	v_mov_b32_e32 v6, v77                                      // 000000012C34: 7E0C034D
	s_mov_b64 s[60:61], 0                                      // 000000012C38: BEBC0180
	v_readlane_b32 s82, v3, 22                                 // 000000012C3C: D2890052 00012D03
	s_and_b32 s82, s82, 0xffffff                               // 000000012C44: 8652FF52 00FFFFFF
	s_cmp_lt_u32 s82, s66                                      // 000000012C4C: BF0A4252
	s_cselect_b32 s20, s36, s60                                // 000000012C50: 85143C24
	v_readlane_b32 s82, v3, 23                                 // 000000012C54: D2890052 00012F03
	s_and_b32 s82, s82, 0xffffff                               // 000000012C5C: 8652FF52 00FFFFFF
	s_cmp_lt_u32 s82, s66                                      // 000000012C64: BF0A4252
	s_cselect_b32 s21, s36, s60                                // 000000012C68: 85153C24
	s_mov_b64 exec, s[20:21]                                   // 000000012C6C: BEFE0114
	global_atomic_add_f32 v6, v201, s[8:9]                     // 000000012C70: DD348000 0008C906
	global_atomic_add_f32 v6, v205, s[8:9] offset:256          // 000000012C78: DD348100 0008CD06
	s_mov_b64 exec, s[36:37]                                   // 000000012C80: BEFE0124
	v_mov_b32_e32 v6, v78                                      // 000000012C84: 7E0C034E
	s_mov_b64 s[60:61], 0                                      // 000000012C88: BEBC0180
	v_readlane_b32 s82, v3, 24                                 // 000000012C8C: D2890052 00013103
	s_and_b32 s82, s82, 0xffffff                               // 000000012C94: 8652FF52 00FFFFFF
	s_cmp_lt_u32 s82, s66                                      // 000000012C9C: BF0A4252
	s_cselect_b32 s20, s36, s60                                // 000000012CA0: 85143C24
	v_readlane_b32 s82, v3, 25                                 // 000000012CA4: D2890052 00013303
	s_and_b32 s82, s82, 0xffffff                               // 000000012CAC: 8652FF52 00FFFFFF
	s_cmp_lt_u32 s82, s66                                      // 000000012CB4: BF0A4252
	s_cselect_b32 s21, s36, s60                                // 000000012CB8: 85153C24
	s_mov_b64 exec, s[20:21]                                   // 000000012CBC: BEFE0114
	global_atomic_add_f32 v6, v208, s[8:9]                     // 000000012CC0: DD348000 0008D006
	global_atomic_add_f32 v6, v212, s[8:9] offset:256          // 000000012CC8: DD348100 0008D406
	s_mov_b64 exec, s[36:37]                                   // 000000012CD0: BEFE0124
	v_mov_b32_e32 v6, v79                                      // 000000012CD4: 7E0C034F
	s_mov_b64 s[60:61], 0                                      // 000000012CD8: BEBC0180
	v_readlane_b32 s82, v3, 26                                 // 000000012CDC: D2890052 00013503
	s_and_b32 s82, s82, 0xffffff                               // 000000012CE4: 8652FF52 00FFFFFF
	s_cmp_lt_u32 s82, s66                                      // 000000012CEC: BF0A4252
	s_cselect_b32 s20, s36, s60                                // 000000012CF0: 85143C24
	v_readlane_b32 s82, v3, 27                                 // 000000012CF4: D2890052 00013703
	s_and_b32 s82, s82, 0xffffff                               // 000000012CFC: 8652FF52 00FFFFFF
	s_cmp_lt_u32 s82, s66                                      // 000000012D04: BF0A4252
	s_cselect_b32 s21, s36, s60                                // 000000012D08: 85153C24
	s_mov_b64 exec, s[20:21]                                   // 000000012D0C: BEFE0114
	global_atomic_add_f32 v6, v209, s[8:9]                     // 000000012D10: DD348000 0008D106
	global_atomic_add_f32 v6, v213, s[8:9] offset:256          // 000000012D18: DD348100 0008D506
	s_mov_b64 exec, s[36:37]                                   // 000000012D20: BEFE0124
	v_mov_b32_e32 v6, v80                                      // 000000012D24: 7E0C0350
	s_mov_b64 s[60:61], 0                                      // 000000012D28: BEBC0180
	v_readlane_b32 s82, v3, 28                                 // 000000012D2C: D2890052 00013903
	s_and_b32 s82, s82, 0xffffff                               // 000000012D34: 8652FF52 00FFFFFF
	s_cmp_lt_u32 s82, s66                                      // 000000012D3C: BF0A4252
	s_cselect_b32 s20, s36, s60                                // 000000012D40: 85143C24
	v_readlane_b32 s82, v3, 29                                 // 000000012D44: D2890052 00013B03
	s_and_b32 s82, s82, 0xffffff                               // 000000012D4C: 8652FF52 00FFFFFF
	s_cmp_lt_u32 s82, s66                                      // 000000012D54: BF0A4252
	s_cselect_b32 s21, s36, s60                                // 000000012D58: 85153C24
	s_mov_b64 exec, s[20:21]                                   // 000000012D5C: BEFE0114
	global_atomic_add_f32 v6, v216, s[8:9]                     // 000000012D60: DD348000 0008D806
	global_atomic_add_f32 v6, v220, s[8:9] offset:256          // 000000012D68: DD348100 0008DC06
	s_mov_b64 exec, s[36:37]                                   // 000000012D70: BEFE0124
	v_mov_b32_e32 v6, v81                                      // 000000012D74: 7E0C0351
	s_mov_b64 s[60:61], 0                                      // 000000012D78: BEBC0180
	v_readlane_b32 s82, v3, 30                                 // 000000012D7C: D2890052 00013D03
	s_and_b32 s82, s82, 0xffffff                               // 000000012D84: 8652FF52 00FFFFFF
	s_cmp_lt_u32 s82, s66                                      // 000000012D8C: BF0A4252
	s_cselect_b32 s20, s36, s60                                // 000000012D90: 85143C24
	v_readlane_b32 s82, v3, 31                                 // 000000012D94: D2890052 00013F03
	s_and_b32 s82, s82, 0xffffff                               // 000000012D9C: 8652FF52 00FFFFFF
	s_cmp_lt_u32 s82, s66                                      // 000000012DA4: BF0A4252
	s_cselect_b32 s21, s36, s60                                // 000000012DA8: 85153C24
	s_mov_b64 exec, s[20:21]                                   // 000000012DAC: BEFE0114
	global_atomic_add_f32 v6, v217, s[8:9]                     // 000000012DB0: DD348000 0008D906
	global_atomic_add_f32 v6, v221, s[8:9] offset:256          // 000000012DB8: DD348100 0008DD06
	s_mov_b64 exec, s[36:37]                                   // 000000012DC0: BEFE0124
	v_mov_b32_e32 v6, v82                                      // 000000012DC4: 7E0C0352
	s_mov_b64 s[60:61], 0                                      // 000000012DC8: BEBC0180
	v_readlane_b32 s82, v3, 32                                 // 000000012DCC: D2890052 00014103
	s_and_b32 s82, s82, 0xffffff                               // 000000012DD4: 8652FF52 00FFFFFF
	s_cmp_lt_u32 s82, s66                                      // 000000012DDC: BF0A4252
	s_cselect_b32 s20, s36, s60                                // 000000012DE0: 85143C24
	v_readlane_b32 s82, v3, 33                                 // 000000012DE4: D2890052 00014303
	s_and_b32 s82, s82, 0xffffff                               // 000000012DEC: 8652FF52 00FFFFFF
	s_cmp_lt_u32 s82, s66                                      // 000000012DF4: BF0A4252
	s_cselect_b32 s21, s36, s60                                // 000000012DF8: 85153C24
	s_mov_b64 exec, s[20:21]                                   // 000000012DFC: BEFE0114
	global_atomic_add_f32 v6, v224, s[8:9]                     // 000000012E00: DD348000 0008E006
	global_atomic_add_f32 v6, v228, s[8:9] offset:256          // 000000012E08: DD348100 0008E406
	s_mov_b64 exec, s[36:37]                                   // 000000012E10: BEFE0124
	v_mov_b32_e32 v6, v83                                      // 000000012E14: 7E0C0353
	s_mov_b64 s[60:61], 0                                      // 000000012E18: BEBC0180
	v_readlane_b32 s82, v3, 34                                 // 000000012E1C: D2890052 00014503
	s_and_b32 s82, s82, 0xffffff                               // 000000012E24: 8652FF52 00FFFFFF
	s_cmp_lt_u32 s82, s66                                      // 000000012E2C: BF0A4252
	s_cselect_b32 s20, s36, s60                                // 000000012E30: 85143C24
	v_readlane_b32 s82, v3, 35                                 // 000000012E34: D2890052 00014703
	s_and_b32 s82, s82, 0xffffff                               // 000000012E3C: 8652FF52 00FFFFFF
	s_cmp_lt_u32 s82, s66                                      // 000000012E44: BF0A4252
	s_cselect_b32 s21, s36, s60                                // 000000012E48: 85153C24
	s_mov_b64 exec, s[20:21]                                   // 000000012E4C: BEFE0114
	global_atomic_add_f32 v6, v225, s[8:9]                     // 000000012E50: DD348000 0008E106
	global_atomic_add_f32 v6, v229, s[8:9] offset:256          // 000000012E58: DD348100 0008E506
	s_mov_b64 exec, s[36:37]                                   // 000000012E60: BEFE0124
	ds_write_b64 v20, v[162:163]                               // 000000012E64: D89A0000 0000A214
	ds_write_b64 v20, v[166:167] offset:4352                   // 000000012E6C: D89A1100 0000A614
	ds_write_b64 v20, v[170:171] offset:8704                   // 000000012E74: D89A2200 0000AA14
	ds_write_b64 v20, v[174:175] offset:13056                  // 000000012E7C: D89A3300 0000AE14
	ds_write_b64 v20, v[178:179] offset:17408                  // 000000012E84: D89A4400 0000B214
	ds_write_b64 v20, v[182:183] offset:21760                  // 000000012E8C: D89A5500 0000B614
	ds_write_b64 v20, v[186:187] offset:26112                  // 000000012E94: D89A6600 0000BA14
	ds_write_b64 v20, v[190:191] offset:30464                  // 000000012E9C: D89A7700 0000BE14
	ds_write_b64 v20, v[194:195] offset:34816                  // 000000012EA4: D89A8800 0000C214
	ds_write_b64 v20, v[198:199] offset:2176                   // 000000012EAC: D89A0880 0000C614
	ds_write_b64 v20, v[202:203] offset:6528                   // 000000012EB4: D89A1980 0000CA14
	ds_write_b64 v20, v[206:207] offset:10880                  // 000000012EBC: D89A2A80 0000CE14
	ds_write_b64 v20, v[210:211] offset:15232                  // 000000012EC4: D89A3B80 0000D214
	ds_write_b64 v20, v[214:215] offset:19584                  // 000000012ECC: D89A4C80 0000D614
	ds_write_b64 v20, v[218:219] offset:23936                  // 000000012ED4: D89A5D80 0000DA14
	ds_write_b64 v20, v[222:223] offset:28288                  // 000000012EDC: D89A6E80 0000DE14
	ds_write_b64 v20, v[226:227] offset:32640                  // 000000012EE4: D89A7F80 0000E214
	ds_write_b64 v20, v[230:231] offset:36992                  // 000000012EEC: D89A9080 0000E614
	s_waitcnt lgkmcnt(0)                                       // 000000012EF4: BF8CC07F
	s_barrier                                                  // 000000012EF8: BF8A0000
	ds_read_b32 v162, v21                                      // 000000012EFC: D86C0000 A2000015
	ds_read_b32 v163, v21 offset:64                            // 000000012F04: D86C0040 A3000015
	ds_read_b32 v166, v21 offset:2176                          // 000000012F0C: D86C0880 A6000015
	ds_read_b32 v167, v21 offset:2240                          // 000000012F14: D86C08C0 A7000015
	ds_read_b32 v170, v21 offset:4352                          // 000000012F1C: D86C1100 AA000015
	ds_read_b32 v171, v21 offset:4416                          // 000000012F24: D86C1140 AB000015
	ds_read_b32 v174, v21 offset:6528                          // 000000012F2C: D86C1980 AE000015
	ds_read_b32 v175, v21 offset:6592                          // 000000012F34: D86C19C0 AF000015
	ds_read_b32 v178, v21 offset:8704                          // 000000012F3C: D86C2200 B2000015
	ds_read_b32 v179, v21 offset:8768                          // 000000012F44: D86C2240 B3000015
	ds_read_b32 v182, v21 offset:10880                         // 000000012F4C: D86C2A80 B6000015
	ds_read_b32 v183, v21 offset:10944                         // 000000012F54: D86C2AC0 B7000015
	ds_read_b32 v186, v21 offset:13056                         // 000000012F5C: D86C3300 BA000015
	ds_read_b32 v187, v21 offset:13120                         // 000000012F64: D86C3340 BB000015
	ds_read_b32 v190, v21 offset:15232                         // 000000012F6C: D86C3B80 BE000015
	ds_read_b32 v191, v21 offset:15296                         // 000000012F74: D86C3BC0 BF000015
	ds_read_b32 v194, v21 offset:17408                         // 000000012F7C: D86C4400 C2000015
	ds_read_b32 v195, v21 offset:17472                         // 000000012F84: D86C4440 C3000015
	ds_read_b32 v198, v21 offset:19584                         // 000000012F8C: D86C4C80 C6000015
	ds_read_b32 v199, v21 offset:19648                         // 000000012F94: D86C4CC0 C7000015
	ds_read_b32 v202, v21 offset:21760                         // 000000012F9C: D86C5500 CA000015
	ds_read_b32 v203, v21 offset:21824                         // 000000012FA4: D86C5540 CB000015
	ds_read_b32 v206, v21 offset:23936                         // 000000012FAC: D86C5D80 CE000015
	ds_read_b32 v207, v21 offset:24000                         // 000000012FB4: D86C5DC0 CF000015
	ds_read_b32 v210, v21 offset:26112                         // 000000012FBC: D86C6600 D2000015
	ds_read_b32 v211, v21 offset:26176                         // 000000012FC4: D86C6640 D3000015
	ds_read_b32 v214, v21 offset:28288                         // 000000012FCC: D86C6E80 D6000015
	ds_read_b32 v215, v21 offset:28352                         // 000000012FD4: D86C6EC0 D7000015
	ds_read_b32 v218, v21 offset:30464                         // 000000012FDC: D86C7700 DA000015
	ds_read_b32 v219, v21 offset:30528                         // 000000012FE4: D86C7740 DB000015
	ds_read_b32 v222, v21 offset:32640                         // 000000012FEC: D86C7F80 DE000015
	ds_read_b32 v223, v21 offset:32704                         // 000000012FF4: D86C7FC0 DF000015
	ds_read_b32 v226, v21 offset:34816                         // 000000012FFC: D86C8800 E2000015
	ds_read_b32 v227, v21 offset:34880                         // 000000013004: D86C8840 E3000015
	ds_read_b32 v230, v21 offset:36992                         // 00000001300C: D86C9080 E6000015
	ds_read_b32 v231, v21 offset:37056                         // 000000013014: D86C90C0 E7000015
	s_waitcnt lgkmcnt(0)                                       // 00000001301C: BF8CC07F
	v_mov_b32_e32 v7, 0                                        // 000000013020: 7E0E0280
	s_mov_b64 exec, s[36:37]                                   // 000000013024: BEFE0124
	v_mov_b32_e32 v6, v66                                      // 000000013028: 7E0C0342
	s_mov_b64 s[60:61], 0                                      // 00000001302C: BEBC0180
	v_readlane_b32 s82, v3, 0                                  // 000000013030: D2890052 00010103
	s_and_b32 s82, s82, 0xffffff                               // 000000013038: 8652FF52 00FFFFFF
	s_cmp_lt_u32 s82, s66                                      // 000000013040: BF0A4252
	s_cselect_b32 s20, s36, s60                                // 000000013044: 85143C24
	v_readlane_b32 s82, v3, 1                                  // 000000013048: D2890052 00010303
	s_and_b32 s82, s82, 0xffffff                               // 000000013050: 8652FF52 00FFFFFF
	s_cmp_lt_u32 s82, s66                                      // 000000013058: BF0A4252
	s_cselect_b32 s21, s36, s60                                // 00000001305C: 85153C24
	s_mov_b64 exec, s[20:21]                                   // 000000013060: BEFE0114
	global_atomic_add_f32 v6, v162, s[8:9] offset:8            // 000000013064: DD348008 0008A206
	global_atomic_add_f32 v6, v166, s[8:9] offset:264          // 00000001306C: DD348108 0008A606
	s_mov_b64 exec, s[36:37]                                   // 000000013074: BEFE0124
	v_mov_b32_e32 v6, v67                                      // 000000013078: 7E0C0343
	s_mov_b64 s[60:61], 0                                      // 00000001307C: BEBC0180
	v_readlane_b32 s82, v3, 2                                  // 000000013080: D2890052 00010503
	s_and_b32 s82, s82, 0xffffff                               // 000000013088: 8652FF52 00FFFFFF
	s_cmp_lt_u32 s82, s66                                      // 000000013090: BF0A4252
	s_cselect_b32 s20, s36, s60                                // 000000013094: 85143C24
	v_readlane_b32 s82, v3, 3                                  // 000000013098: D2890052 00010703
	s_and_b32 s82, s82, 0xffffff                               // 0000000130A0: 8652FF52 00FFFFFF
	s_cmp_lt_u32 s82, s66                                      // 0000000130A8: BF0A4252
	s_cselect_b32 s21, s36, s60                                // 0000000130AC: 85153C24
	s_mov_b64 exec, s[20:21]                                   // 0000000130B0: BEFE0114
	global_atomic_add_f32 v6, v163, s[8:9] offset:8            // 0000000130B4: DD348008 0008A306
	global_atomic_add_f32 v6, v167, s[8:9] offset:264          // 0000000130BC: DD348108 0008A706
	s_mov_b64 exec, s[36:37]                                   // 0000000130C4: BEFE0124
	v_mov_b32_e32 v6, v68                                      // 0000000130C8: 7E0C0344
	s_mov_b64 s[60:61], 0                                      // 0000000130CC: BEBC0180
	v_readlane_b32 s82, v3, 4                                  // 0000000130D0: D2890052 00010903
	s_and_b32 s82, s82, 0xffffff                               // 0000000130D8: 8652FF52 00FFFFFF
	s_cmp_lt_u32 s82, s66                                      // 0000000130E0: BF0A4252
	s_cselect_b32 s20, s36, s60                                // 0000000130E4: 85143C24
	v_readlane_b32 s82, v3, 5                                  // 0000000130E8: D2890052 00010B03
	s_and_b32 s82, s82, 0xffffff                               // 0000000130F0: 8652FF52 00FFFFFF
	s_cmp_lt_u32 s82, s66                                      // 0000000130F8: BF0A4252
	s_cselect_b32 s21, s36, s60                                // 0000000130FC: 85153C24
	s_mov_b64 exec, s[20:21]                                   // 000000013100: BEFE0114
	global_atomic_add_f32 v6, v170, s[8:9] offset:8            // 000000013104: DD348008 0008AA06
	global_atomic_add_f32 v6, v174, s[8:9] offset:264          // 00000001310C: DD348108 0008AE06
	s_mov_b64 exec, s[36:37]                                   // 000000013114: BEFE0124
	v_mov_b32_e32 v6, v69                                      // 000000013118: 7E0C0345
	s_mov_b64 s[60:61], 0                                      // 00000001311C: BEBC0180
	v_readlane_b32 s82, v3, 6                                  // 000000013120: D2890052 00010D03
	s_and_b32 s82, s82, 0xffffff                               // 000000013128: 8652FF52 00FFFFFF
	s_cmp_lt_u32 s82, s66                                      // 000000013130: BF0A4252
	s_cselect_b32 s20, s36, s60                                // 000000013134: 85143C24
	v_readlane_b32 s82, v3, 7                                  // 000000013138: D2890052 00010F03
	s_and_b32 s82, s82, 0xffffff                               // 000000013140: 8652FF52 00FFFFFF
	s_cmp_lt_u32 s82, s66                                      // 000000013148: BF0A4252
	s_cselect_b32 s21, s36, s60                                // 00000001314C: 85153C24
	s_mov_b64 exec, s[20:21]                                   // 000000013150: BEFE0114
	global_atomic_add_f32 v6, v171, s[8:9] offset:8            // 000000013154: DD348008 0008AB06
	global_atomic_add_f32 v6, v175, s[8:9] offset:264          // 00000001315C: DD348108 0008AF06
	s_mov_b64 exec, s[36:37]                                   // 000000013164: BEFE0124
	v_mov_b32_e32 v6, v70                                      // 000000013168: 7E0C0346
	s_mov_b64 s[60:61], 0                                      // 00000001316C: BEBC0180
	v_readlane_b32 s82, v3, 8                                  // 000000013170: D2890052 00011103
	s_and_b32 s82, s82, 0xffffff                               // 000000013178: 8652FF52 00FFFFFF
	s_cmp_lt_u32 s82, s66                                      // 000000013180: BF0A4252
	s_cselect_b32 s20, s36, s60                                // 000000013184: 85143C24
	v_readlane_b32 s82, v3, 9                                  // 000000013188: D2890052 00011303
	s_and_b32 s82, s82, 0xffffff                               // 000000013190: 8652FF52 00FFFFFF
	s_cmp_lt_u32 s82, s66                                      // 000000013198: BF0A4252
	s_cselect_b32 s21, s36, s60                                // 00000001319C: 85153C24
	s_mov_b64 exec, s[20:21]                                   // 0000000131A0: BEFE0114
	global_atomic_add_f32 v6, v178, s[8:9] offset:8            // 0000000131A4: DD348008 0008B206
	global_atomic_add_f32 v6, v182, s[8:9] offset:264          // 0000000131AC: DD348108 0008B606
	s_mov_b64 exec, s[36:37]                                   // 0000000131B4: BEFE0124
	v_mov_b32_e32 v6, v71                                      // 0000000131B8: 7E0C0347
	s_mov_b64 s[60:61], 0                                      // 0000000131BC: BEBC0180
	v_readlane_b32 s82, v3, 10                                 // 0000000131C0: D2890052 00011503
	s_and_b32 s82, s82, 0xffffff                               // 0000000131C8: 8652FF52 00FFFFFF
	s_cmp_lt_u32 s82, s66                                      // 0000000131D0: BF0A4252
	s_cselect_b32 s20, s36, s60                                // 0000000131D4: 85143C24
	v_readlane_b32 s82, v3, 11                                 // 0000000131D8: D2890052 00011703
	s_and_b32 s82, s82, 0xffffff                               // 0000000131E0: 8652FF52 00FFFFFF
	s_cmp_lt_u32 s82, s66                                      // 0000000131E8: BF0A4252
	s_cselect_b32 s21, s36, s60                                // 0000000131EC: 85153C24
	s_mov_b64 exec, s[20:21]                                   // 0000000131F0: BEFE0114
	global_atomic_add_f32 v6, v179, s[8:9] offset:8            // 0000000131F4: DD348008 0008B306
	global_atomic_add_f32 v6, v183, s[8:9] offset:264          // 0000000131FC: DD348108 0008B706
	s_mov_b64 exec, s[36:37]                                   // 000000013204: BEFE0124
	v_mov_b32_e32 v6, v72                                      // 000000013208: 7E0C0348
	s_mov_b64 s[60:61], 0                                      // 00000001320C: BEBC0180
	v_readlane_b32 s82, v3, 12                                 // 000000013210: D2890052 00011903
	s_and_b32 s82, s82, 0xffffff                               // 000000013218: 8652FF52 00FFFFFF
	s_cmp_lt_u32 s82, s66                                      // 000000013220: BF0A4252
	s_cselect_b32 s20, s36, s60                                // 000000013224: 85143C24
	v_readlane_b32 s82, v3, 13                                 // 000000013228: D2890052 00011B03
	s_and_b32 s82, s82, 0xffffff                               // 000000013230: 8652FF52 00FFFFFF
	s_cmp_lt_u32 s82, s66                                      // 000000013238: BF0A4252
	s_cselect_b32 s21, s36, s60                                // 00000001323C: 85153C24
	s_mov_b64 exec, s[20:21]                                   // 000000013240: BEFE0114
	global_atomic_add_f32 v6, v186, s[8:9] offset:8            // 000000013244: DD348008 0008BA06
	global_atomic_add_f32 v6, v190, s[8:9] offset:264          // 00000001324C: DD348108 0008BE06
	s_mov_b64 exec, s[36:37]                                   // 000000013254: BEFE0124
	v_mov_b32_e32 v6, v73                                      // 000000013258: 7E0C0349
	s_mov_b64 s[60:61], 0                                      // 00000001325C: BEBC0180
	v_readlane_b32 s82, v3, 14                                 // 000000013260: D2890052 00011D03
	s_and_b32 s82, s82, 0xffffff                               // 000000013268: 8652FF52 00FFFFFF
	s_cmp_lt_u32 s82, s66                                      // 000000013270: BF0A4252
	s_cselect_b32 s20, s36, s60                                // 000000013274: 85143C24
	v_readlane_b32 s82, v3, 15                                 // 000000013278: D2890052 00011F03
	s_and_b32 s82, s82, 0xffffff                               // 000000013280: 8652FF52 00FFFFFF
	s_cmp_lt_u32 s82, s66                                      // 000000013288: BF0A4252
	s_cselect_b32 s21, s36, s60                                // 00000001328C: 85153C24
	s_mov_b64 exec, s[20:21]                                   // 000000013290: BEFE0114
	global_atomic_add_f32 v6, v187, s[8:9] offset:8            // 000000013294: DD348008 0008BB06
	global_atomic_add_f32 v6, v191, s[8:9] offset:264          // 00000001329C: DD348108 0008BF06
	s_mov_b64 exec, s[36:37]                                   // 0000000132A4: BEFE0124
	v_mov_b32_e32 v6, v74                                      // 0000000132A8: 7E0C034A
	s_mov_b64 s[60:61], 0                                      // 0000000132AC: BEBC0180
	v_readlane_b32 s82, v3, 16                                 // 0000000132B0: D2890052 00012103
	s_and_b32 s82, s82, 0xffffff                               // 0000000132B8: 8652FF52 00FFFFFF
	s_cmp_lt_u32 s82, s66                                      // 0000000132C0: BF0A4252
	s_cselect_b32 s20, s36, s60                                // 0000000132C4: 85143C24
	v_readlane_b32 s82, v3, 17                                 // 0000000132C8: D2890052 00012303
	s_and_b32 s82, s82, 0xffffff                               // 0000000132D0: 8652FF52 00FFFFFF
	s_cmp_lt_u32 s82, s66                                      // 0000000132D8: BF0A4252
	s_cselect_b32 s21, s36, s60                                // 0000000132DC: 85153C24
	s_mov_b64 exec, s[20:21]                                   // 0000000132E0: BEFE0114
	global_atomic_add_f32 v6, v194, s[8:9] offset:8            // 0000000132E4: DD348008 0008C206
	global_atomic_add_f32 v6, v198, s[8:9] offset:264          // 0000000132EC: DD348108 0008C606
	s_mov_b64 exec, s[36:37]                                   // 0000000132F4: BEFE0124
	v_mov_b32_e32 v6, v75                                      // 0000000132F8: 7E0C034B
	s_mov_b64 s[60:61], 0                                      // 0000000132FC: BEBC0180
	v_readlane_b32 s82, v3, 18                                 // 000000013300: D2890052 00012503
	s_and_b32 s82, s82, 0xffffff                               // 000000013308: 8652FF52 00FFFFFF
	s_cmp_lt_u32 s82, s66                                      // 000000013310: BF0A4252
	s_cselect_b32 s20, s36, s60                                // 000000013314: 85143C24
	v_readlane_b32 s82, v3, 19                                 // 000000013318: D2890052 00012703
	s_and_b32 s82, s82, 0xffffff                               // 000000013320: 8652FF52 00FFFFFF
	s_cmp_lt_u32 s82, s66                                      // 000000013328: BF0A4252
	s_cselect_b32 s21, s36, s60                                // 00000001332C: 85153C24
	s_mov_b64 exec, s[20:21]                                   // 000000013330: BEFE0114
	global_atomic_add_f32 v6, v195, s[8:9] offset:8            // 000000013334: DD348008 0008C306
	global_atomic_add_f32 v6, v199, s[8:9] offset:264          // 00000001333C: DD348108 0008C706
	s_mov_b64 exec, s[36:37]                                   // 000000013344: BEFE0124
	v_mov_b32_e32 v6, v76                                      // 000000013348: 7E0C034C
	s_mov_b64 s[60:61], 0                                      // 00000001334C: BEBC0180
	v_readlane_b32 s82, v3, 20                                 // 000000013350: D2890052 00012903
	s_and_b32 s82, s82, 0xffffff                               // 000000013358: 8652FF52 00FFFFFF
	s_cmp_lt_u32 s82, s66                                      // 000000013360: BF0A4252
	s_cselect_b32 s20, s36, s60                                // 000000013364: 85143C24
	v_readlane_b32 s82, v3, 21                                 // 000000013368: D2890052 00012B03
	s_and_b32 s82, s82, 0xffffff                               // 000000013370: 8652FF52 00FFFFFF
	s_cmp_lt_u32 s82, s66                                      // 000000013378: BF0A4252
	s_cselect_b32 s21, s36, s60                                // 00000001337C: 85153C24
	s_mov_b64 exec, s[20:21]                                   // 000000013380: BEFE0114
	global_atomic_add_f32 v6, v202, s[8:9] offset:8            // 000000013384: DD348008 0008CA06
	global_atomic_add_f32 v6, v206, s[8:9] offset:264          // 00000001338C: DD348108 0008CE06
	s_mov_b64 exec, s[36:37]                                   // 000000013394: BEFE0124
	v_mov_b32_e32 v6, v77                                      // 000000013398: 7E0C034D
	s_mov_b64 s[60:61], 0                                      // 00000001339C: BEBC0180
	v_readlane_b32 s82, v3, 22                                 // 0000000133A0: D2890052 00012D03
	s_and_b32 s82, s82, 0xffffff                               // 0000000133A8: 8652FF52 00FFFFFF
	s_cmp_lt_u32 s82, s66                                      // 0000000133B0: BF0A4252
	s_cselect_b32 s20, s36, s60                                // 0000000133B4: 85143C24
	v_readlane_b32 s82, v3, 23                                 // 0000000133B8: D2890052 00012F03
	s_and_b32 s82, s82, 0xffffff                               // 0000000133C0: 8652FF52 00FFFFFF
	s_cmp_lt_u32 s82, s66                                      // 0000000133C8: BF0A4252
	s_cselect_b32 s21, s36, s60                                // 0000000133CC: 85153C24
	s_mov_b64 exec, s[20:21]                                   // 0000000133D0: BEFE0114
	global_atomic_add_f32 v6, v203, s[8:9] offset:8            // 0000000133D4: DD348008 0008CB06
	global_atomic_add_f32 v6, v207, s[8:9] offset:264          // 0000000133DC: DD348108 0008CF06
	s_mov_b64 exec, s[36:37]                                   // 0000000133E4: BEFE0124
	v_mov_b32_e32 v6, v78                                      // 0000000133E8: 7E0C034E
	s_mov_b64 s[60:61], 0                                      // 0000000133EC: BEBC0180
	v_readlane_b32 s82, v3, 24                                 // 0000000133F0: D2890052 00013103
	s_and_b32 s82, s82, 0xffffff                               // 0000000133F8: 8652FF52 00FFFFFF
	s_cmp_lt_u32 s82, s66                                      // 000000013400: BF0A4252
	s_cselect_b32 s20, s36, s60                                // 000000013404: 85143C24
	v_readlane_b32 s82, v3, 25                                 // 000000013408: D2890052 00013303
	s_and_b32 s82, s82, 0xffffff                               // 000000013410: 8652FF52 00FFFFFF
	s_cmp_lt_u32 s82, s66                                      // 000000013418: BF0A4252
	s_cselect_b32 s21, s36, s60                                // 00000001341C: 85153C24
	s_mov_b64 exec, s[20:21]                                   // 000000013420: BEFE0114
	global_atomic_add_f32 v6, v210, s[8:9] offset:8            // 000000013424: DD348008 0008D206
	global_atomic_add_f32 v6, v214, s[8:9] offset:264          // 00000001342C: DD348108 0008D606
	s_mov_b64 exec, s[36:37]                                   // 000000013434: BEFE0124
	v_mov_b32_e32 v6, v79                                      // 000000013438: 7E0C034F
	s_mov_b64 s[60:61], 0                                      // 00000001343C: BEBC0180
	v_readlane_b32 s82, v3, 26                                 // 000000013440: D2890052 00013503
	s_and_b32 s82, s82, 0xffffff                               // 000000013448: 8652FF52 00FFFFFF
	s_cmp_lt_u32 s82, s66                                      // 000000013450: BF0A4252
	s_cselect_b32 s20, s36, s60                                // 000000013454: 85143C24
	v_readlane_b32 s82, v3, 27                                 // 000000013458: D2890052 00013703
	s_and_b32 s82, s82, 0xffffff                               // 000000013460: 8652FF52 00FFFFFF
	s_cmp_lt_u32 s82, s66                                      // 000000013468: BF0A4252
	s_cselect_b32 s21, s36, s60                                // 00000001346C: 85153C24
	s_mov_b64 exec, s[20:21]                                   // 000000013470: BEFE0114
	global_atomic_add_f32 v6, v211, s[8:9] offset:8            // 000000013474: DD348008 0008D306
	global_atomic_add_f32 v6, v215, s[8:9] offset:264          // 00000001347C: DD348108 0008D706
	s_mov_b64 exec, s[36:37]                                   // 000000013484: BEFE0124
	v_mov_b32_e32 v6, v80                                      // 000000013488: 7E0C0350
	s_mov_b64 s[60:61], 0                                      // 00000001348C: BEBC0180
	v_readlane_b32 s82, v3, 28                                 // 000000013490: D2890052 00013903
	s_and_b32 s82, s82, 0xffffff                               // 000000013498: 8652FF52 00FFFFFF
	s_cmp_lt_u32 s82, s66                                      // 0000000134A0: BF0A4252
	s_cselect_b32 s20, s36, s60                                // 0000000134A4: 85143C24
	v_readlane_b32 s82, v3, 29                                 // 0000000134A8: D2890052 00013B03
	s_and_b32 s82, s82, 0xffffff                               // 0000000134B0: 8652FF52 00FFFFFF
	s_cmp_lt_u32 s82, s66                                      // 0000000134B8: BF0A4252
	s_cselect_b32 s21, s36, s60                                // 0000000134BC: 85153C24
	s_mov_b64 exec, s[20:21]                                   // 0000000134C0: BEFE0114
	global_atomic_add_f32 v6, v218, s[8:9] offset:8            // 0000000134C4: DD348008 0008DA06
	global_atomic_add_f32 v6, v222, s[8:9] offset:264          // 0000000134CC: DD348108 0008DE06
	s_mov_b64 exec, s[36:37]                                   // 0000000134D4: BEFE0124
	v_mov_b32_e32 v6, v81                                      // 0000000134D8: 7E0C0351
	s_mov_b64 s[60:61], 0                                      // 0000000134DC: BEBC0180
	v_readlane_b32 s82, v3, 30                                 // 0000000134E0: D2890052 00013D03
	s_and_b32 s82, s82, 0xffffff                               // 0000000134E8: 8652FF52 00FFFFFF
	s_cmp_lt_u32 s82, s66                                      // 0000000134F0: BF0A4252
	s_cselect_b32 s20, s36, s60                                // 0000000134F4: 85143C24
	v_readlane_b32 s82, v3, 31                                 // 0000000134F8: D2890052 00013F03
	s_and_b32 s82, s82, 0xffffff                               // 000000013500: 8652FF52 00FFFFFF
	s_cmp_lt_u32 s82, s66                                      // 000000013508: BF0A4252
	s_cselect_b32 s21, s36, s60                                // 00000001350C: 85153C24
	s_mov_b64 exec, s[20:21]                                   // 000000013510: BEFE0114
	global_atomic_add_f32 v6, v219, s[8:9] offset:8            // 000000013514: DD348008 0008DB06
	global_atomic_add_f32 v6, v223, s[8:9] offset:264          // 00000001351C: DD348108 0008DF06
	s_mov_b64 exec, s[36:37]                                   // 000000013524: BEFE0124
	v_mov_b32_e32 v6, v82                                      // 000000013528: 7E0C0352
	s_mov_b64 s[60:61], 0                                      // 00000001352C: BEBC0180
	v_readlane_b32 s82, v3, 32                                 // 000000013530: D2890052 00014103
	s_and_b32 s82, s82, 0xffffff                               // 000000013538: 8652FF52 00FFFFFF
	s_cmp_lt_u32 s82, s66                                      // 000000013540: BF0A4252
	s_cselect_b32 s20, s36, s60                                // 000000013544: 85143C24
	v_readlane_b32 s82, v3, 33                                 // 000000013548: D2890052 00014303
	s_and_b32 s82, s82, 0xffffff                               // 000000013550: 8652FF52 00FFFFFF
	s_cmp_lt_u32 s82, s66                                      // 000000013558: BF0A4252
	s_cselect_b32 s21, s36, s60                                // 00000001355C: 85153C24
	s_mov_b64 exec, s[20:21]                                   // 000000013560: BEFE0114
	global_atomic_add_f32 v6, v226, s[8:9] offset:8            // 000000013564: DD348008 0008E206
	global_atomic_add_f32 v6, v230, s[8:9] offset:264          // 00000001356C: DD348108 0008E606
	s_mov_b64 exec, s[36:37]                                   // 000000013574: BEFE0124
	v_mov_b32_e32 v6, v83                                      // 000000013578: 7E0C0353
	s_mov_b64 s[60:61], 0                                      // 00000001357C: BEBC0180
	v_readlane_b32 s82, v3, 34                                 // 000000013580: D2890052 00014503
	s_and_b32 s82, s82, 0xffffff                               // 000000013588: 8652FF52 00FFFFFF
	s_cmp_lt_u32 s82, s66                                      // 000000013590: BF0A4252
	s_cselect_b32 s20, s36, s60                                // 000000013594: 85143C24
	v_readlane_b32 s82, v3, 35                                 // 000000013598: D2890052 00014703
	s_and_b32 s82, s82, 0xffffff                               // 0000000135A0: 8652FF52 00FFFFFF
	s_cmp_lt_u32 s82, s66                                      // 0000000135A8: BF0A4252
	s_cselect_b32 s21, s36, s60                                // 0000000135AC: 85153C24
	s_mov_b64 exec, s[20:21]                                   // 0000000135B0: BEFE0114
	global_atomic_add_f32 v6, v227, s[8:9] offset:8            // 0000000135B4: DD348008 0008E306
	global_atomic_add_f32 v6, v231, s[8:9] offset:264          // 0000000135BC: DD348108 0008E706
	s_mov_b64 exec, s[36:37]                                   // 0000000135C4: BEFE0124
	s_branch label_42F6                                        // 0000000135C8: BF820000

00000000000135cc <label_42F6>:
	s_waitcnt vmcnt(0) expcnt(0) lgkmcnt(0)                    // 0000000135CC: BF8C0000
	s_endpgm                                                   // 0000000135D0: BF810000
